;; amdgpu-corpus repo=ROCm/rocFFT kind=compiled arch=gfx950 opt=O3
	.text
	.amdgcn_target "amdgcn-amd-amdhsa--gfx950"
	.amdhsa_code_object_version 6
	.protected	bluestein_single_fwd_len1372_dim1_sp_op_CI_CI ; -- Begin function bluestein_single_fwd_len1372_dim1_sp_op_CI_CI
	.globl	bluestein_single_fwd_len1372_dim1_sp_op_CI_CI
	.p2align	8
	.type	bluestein_single_fwd_len1372_dim1_sp_op_CI_CI,@function
bluestein_single_fwd_len1372_dim1_sp_op_CI_CI: ; @bluestein_single_fwd_len1372_dim1_sp_op_CI_CI
; %bb.0:
	s_load_dwordx4 s[16:19], s[0:1], 0x28
	v_mul_u32_u24_e32 v1, 0x29d, v0
	v_lshrrev_b32_e32 v6, 16, v1
	v_lshl_add_u32 v2, s2, 1, v6
	v_mov_b32_e32 v3, 0
	s_waitcnt lgkmcnt(0)
	v_cmp_gt_u64_e32 vcc, s[16:17], v[2:3]
	s_and_saveexec_b64 s[2:3], vcc
	s_cbranch_execz .LBB0_2
; %bb.1:
	s_load_dwordx4 s[12:15], s[0:1], 0x18
	s_load_dwordx4 s[8:11], s[0:1], 0x0
	v_mul_lo_u16_e32 v1, 0x62, v6
	v_sub_u16_e32 v86, v0, v1
	v_mov_b32_e32 v4, s18
	s_waitcnt lgkmcnt(0)
	s_load_dwordx4 s[4:7], s[14:15], 0x0
	v_mov_b32_e32 v5, s19
	s_load_dwordx4 s[12:15], s[12:13], 0x0
	v_mov_b32_e32 v122, 0xffffeda0
	v_and_b32_e32 v46, 1, v86
	s_waitcnt lgkmcnt(0)
	v_mad_u64_u32 v[78:79], s[2:3], s6, v2, 0
	v_mad_u64_u32 v[8:9], s[2:3], s14, v2, 0
	v_mov_b32_e32 v10, v79
	v_mad_u64_u32 v[92:93], s[2:3], s7, v2, v[10:11]
	v_mov_b32_e32 v10, v9
	v_mad_u64_u32 v[0:1], s[2:3], s12, v86, 0
	v_mad_u64_u32 v[10:11], s[2:3], s15, v2, v[10:11]
	v_mov_b32_e32 v2, v1
	v_mov_b32_e32 v9, v10
	v_mad_u64_u32 v[10:11], s[2:3], s13, v86, v[2:3]
	v_mov_b32_e32 v1, v10
	v_lshl_add_u64 v[4:5], v[8:9], 3, v[4:5]
	v_lshl_add_u64 v[4:5], v[0:1], 3, v[4:5]
	v_mov_b32_e32 v93, 0x1570
	v_mad_u64_u32 v[8:9], s[2:3], s12, v93, v[4:5]
	s_mul_i32 s2, s13, 0x1570
	v_lshlrev_b32_e32 v2, 3, v86
	v_add_u32_e32 v9, s2, v9
	s_mul_i32 s3, s13, 0xffffeda0
	global_load_dwordx2 v[0:1], v[4:5], off
	v_lshl_add_u64 v[110:111], s[8:9], 0, v[2:3]
	global_load_dwordx2 v[4:5], v[8:9], off
	s_movk_i32 s15, 0x1000
	v_mad_u64_u32 v[8:9], s[6:7], s12, v122, v[8:9]
	s_sub_i32 s3, s3, s12
	v_add_co_u32_e32 v10, vcc, s15, v110
	v_add_u32_e32 v9, s3, v9
	s_nop 0
	v_addc_co_u32_e32 v11, vcc, 0, v111, vcc
	global_load_dwordx2 v[104:105], v2, s[8:9]
	global_load_dwordx2 v[94:95], v2, s[8:9] offset:784
	global_load_dwordx2 v[82:83], v2, s[8:9] offset:1568
	;; [unrolled: 1-line block ×4, first 2 shown]
	global_load_dwordx2 v[108:109], v[10:11], off offset:1392
	global_load_dwordx2 v[106:107], v[10:11], off offset:2176
	;; [unrolled: 1-line block ×4, first 2 shown]
	global_load_dwordx2 v[12:13], v[8:9], off
	v_mad_u64_u32 v[8:9], s[6:7], s12, v93, v[8:9]
	v_add_u32_e32 v9, s2, v9
	v_mad_u64_u32 v[14:15], s[6:7], s12, v122, v[8:9]
	v_add_u32_e32 v15, s3, v15
	global_load_dwordx2 v[8:9], v[8:9], off
	v_and_b32_e32 v3, 1, v6
	global_load_dwordx2 v[16:17], v[14:15], off
	v_mad_u64_u32 v[14:15], s[6:7], s12, v93, v[14:15]
	v_add_u32_e32 v15, s2, v15
	global_load_dwordx2 v[18:19], v[14:15], off
	v_mad_u64_u32 v[14:15], s[6:7], s12, v122, v[14:15]
	v_add_u32_e32 v15, s3, v15
	global_load_dwordx2 v[20:21], v[14:15], off
	v_mad_u64_u32 v[14:15], s[6:7], s12, v93, v[14:15]
	v_add_u32_e32 v15, s2, v15
	global_load_dwordx2 v[22:23], v[14:15], off
	v_mad_u64_u32 v[14:15], s[6:7], s12, v122, v[14:15]
	v_add_u32_e32 v15, s3, v15
	global_load_dwordx2 v[24:25], v[14:15], off
	v_mad_u64_u32 v[14:15], s[6:7], s12, v93, v[14:15]
	v_add_u32_e32 v15, s2, v15
	s_movk_i32 s6, 0x2000
	global_load_dwordx2 v[26:27], v[14:15], off
	v_add_co_u32_e32 v114, vcc, s6, v110
	v_mad_u64_u32 v[14:15], s[6:7], s12, v122, v[14:15]
	s_nop 0
	v_addc_co_u32_e32 v115, vcc, 0, v111, vcc
	v_add_u32_e32 v15, s3, v15
	global_load_dwordx2 v[102:103], v[114:115], off offset:432
	global_load_dwordx2 v[28:29], v[14:15], off
	global_load_dwordx2 v[100:101], v2, s[8:9] offset:3920
	global_load_dwordx2 v[88:89], v[10:11], off offset:608
	v_mad_u64_u32 v[10:11], s[6:7], s12, v93, v[14:15]
	v_add_u32_e32 v11, s2, v11
	global_load_dwordx2 v[14:15], v[10:11], off
	global_load_dwordx2 v[96:97], v[114:115], off offset:1216
	v_mad_u64_u32 v[10:11], s[6:7], s12, v122, v[10:11]
	v_add_u32_e32 v11, s3, v11
	global_load_dwordx2 v[30:31], v[10:11], off
	v_mad_u64_u32 v[10:11], s[6:7], s12, v93, v[10:11]
	v_add_u32_e32 v11, s2, v11
	global_load_dwordx2 v[32:33], v[10:11], off
	global_load_dwordx2 v[90:91], v[114:115], off offset:2000
	v_mov_b32_e32 v6, 0x2ae0
	v_cmp_eq_u32_e32 vcc, 1, v3
	s_mov_b32 s2, 0
	v_mov_b32_e32 v87, s2
	v_cndmask_b32_e32 v68, 0, v6, vcc
	v_add_u32_e32 v79, v68, v2
	v_add_u32_e32 v127, 0x1800, v79
	;; [unrolled: 1-line block ×7, first 2 shown]
	s_mov_b64 s[2:3], 0x62
	v_lshl_add_u64 v[40:41], v[86:87], 0, s[2:3]
	v_lshl_add_u32 v129, v86, 4, v68
	v_lshl_add_u32 v87, v40, 4, v68
	s_movk_i32 s2, 0xfc
	v_and_b32_e32 v69, 3, v86
	s_mov_b32 s16, 0x3eae86e6
	s_waitcnt vmcnt(25)
	v_mul_f32_e32 v2, v1, v105
	v_mul_f32_e32 v3, v0, v105
	v_fmac_f32_e32 v2, v0, v104
	v_fma_f32 v3, v1, v104, -v3
	s_mov_b32 s17, 0xbf08b237
	s_waitcnt vmcnt(20)
	v_mul_f32_e32 v0, v5, v109
	v_mul_f32_e32 v1, v4, v109
	v_fmac_f32_e32 v0, v4, v108
	v_fma_f32 v1, v5, v108, -v1
	ds_write_b64 v79, v[0:1] offset:5488
	s_waitcnt vmcnt(16)
	v_mul_f32_e32 v0, v13, v95
	v_mul_f32_e32 v1, v12, v95
	v_fmac_f32_e32 v0, v12, v94
	v_fma_f32 v1, v13, v94, -v1
	ds_write2_b64 v79, v[2:3], v[0:1] offset1:98
	s_mov_b32 s18, s17
	s_waitcnt vmcnt(15)
	v_mul_f32_e32 v0, v9, v107
	v_mul_f32_e32 v1, v8, v107
	v_fmac_f32_e32 v0, v8, v106
	v_fma_f32 v1, v9, v106, -v1
	s_waitcnt vmcnt(14)
	v_mul_f32_e32 v2, v17, v83
	v_mul_f32_e32 v3, v16, v83
	s_waitcnt vmcnt(13)
	v_mul_f32_e32 v4, v19, v99
	v_mul_f32_e32 v5, v18, v99
	v_fmac_f32_e32 v4, v18, v98
	v_fma_f32 v5, v19, v98, -v5
	ds_write2_b64 v127, v[0:1], v[4:5] offset0:16 offset1:114
	s_waitcnt vmcnt(12)
	v_mul_f32_e32 v0, v21, v81
	v_mul_f32_e32 v1, v20, v81
	v_fmac_f32_e32 v2, v16, v82
	v_fma_f32 v3, v17, v82, -v3
	v_fmac_f32_e32 v0, v20, v80
	v_fma_f32 v1, v21, v80, -v1
	ds_write2_b64 v126, v[2:3], v[0:1] offset0:68 offset1:166
	s_waitcnt vmcnt(11)
	v_mul_f32_e32 v0, v23, v85
	v_mul_f32_e32 v1, v22, v85
	v_fmac_f32_e32 v0, v22, v84
	v_fma_f32 v1, v23, v84, -v1
	s_waitcnt vmcnt(10)
	v_mul_f32_e32 v2, v25, v77
	v_mul_f32_e32 v3, v24, v77
	v_fmac_f32_e32 v2, v24, v76
	v_fma_f32 v3, v25, v76, -v3
	s_mov_b32 s19, s16
	s_mov_b32 s6, 0x3d64c772
	;; [unrolled: 1-line block ×5, first 2 shown]
	s_waitcnt vmcnt(8)
	v_mul_f32_e32 v4, v27, v103
	v_mul_f32_e32 v5, v26, v103
	v_fmac_f32_e32 v4, v26, v102
	v_fma_f32 v5, v27, v102, -v5
	ds_write2_b64 v125, v[0:1], v[4:5] offset0:84 offset1:182
	s_waitcnt vmcnt(6)
	v_mul_f32_e32 v0, v29, v101
	v_mul_f32_e32 v1, v28, v101
	v_fmac_f32_e32 v0, v28, v100
	v_fma_f32 v1, v29, v100, -v1
	ds_write2_b64 v124, v[2:3], v[0:1] offset0:136 offset1:234
	s_waitcnt vmcnt(2)
	v_mul_f32_e32 v2, v31, v89
	v_mul_f32_e32 v3, v30, v89
	v_fmac_f32_e32 v2, v30, v88
	v_fma_f32 v3, v31, v88, -v3
	v_mul_f32_e32 v0, v15, v97
	v_mul_f32_e32 v1, v14, v97
	ds_write_b64 v79, v[2:3] offset:4704
	s_waitcnt vmcnt(0)
	v_mul_f32_e32 v2, v33, v91
	v_mul_f32_e32 v3, v32, v91
	v_fmac_f32_e32 v0, v14, v96
	v_fma_f32 v1, v15, v96, -v1
	v_fmac_f32_e32 v2, v32, v90
	v_fma_f32 v3, v33, v90, -v3
	ds_write2_b64 v123, v[0:1], v[2:3] offset0:152 offset1:250
	s_waitcnt lgkmcnt(0)
	s_barrier
	ds_read2_b64 v[0:3], v79 offset1:98
	ds_read2_b64 v[4:7], v128 offset0:76 offset1:174
	ds_read2_b64 v[8:11], v127 offset0:16 offset1:114
	;; [unrolled: 1-line block ×5, first 2 shown]
	s_waitcnt lgkmcnt(4)
	v_pk_add_f32 v[14:15], v[0:1], v[6:7] neg_lo:[0,1] neg_hi:[0,1]
	s_waitcnt lgkmcnt(3)
	v_pk_add_f32 v[8:9], v[2:3], v[8:9] neg_lo:[0,1] neg_hi:[0,1]
	v_pk_fma_f32 v[12:13], v[0:1], 2.0, v[14:15] op_sel_hi:[1,0,1] neg_lo:[0,0,1] neg_hi:[0,0,1]
	v_pk_fma_f32 v[6:7], v[2:3], 2.0, v[8:9] op_sel_hi:[1,0,1] neg_lo:[0,0,1] neg_hi:[0,0,1]
	ds_read2_b64 v[0:3], v125 offset0:84 offset1:182
	s_waitcnt lgkmcnt(3)
	v_pk_add_f32 v[22:23], v[16:17], v[10:11] neg_lo:[0,1] neg_hi:[0,1]
	v_lshlrev_b32_e32 v10, 1, v86
	v_add_u32_e32 v41, 0x188, v10
	v_add_u32_e32 v42, 0x24c, v10
	s_waitcnt lgkmcnt(0)
	v_pk_add_f32 v[34:35], v[18:19], v[0:1] neg_lo:[0,1] neg_hi:[0,1]
	v_pk_add_f32 v[2:3], v[24:25], v[2:3] neg_lo:[0,1] neg_hi:[0,1]
	v_pk_fma_f32 v[32:33], v[18:19], 2.0, v[34:35] op_sel_hi:[1,0,1] neg_lo:[0,0,1] neg_hi:[0,0,1]
	v_pk_add_f32 v[18:19], v[26:27], v[28:29] neg_lo:[0,1] neg_hi:[0,1]
	v_add_u32_e32 v43, 0x310, v10
	v_pk_fma_f32 v[20:21], v[16:17], 2.0, v[22:23] op_sel_hi:[1,0,1] neg_lo:[0,0,1] neg_hi:[0,0,1]
	v_pk_fma_f32 v[0:1], v[24:25], 2.0, v[2:3] op_sel_hi:[1,0,1] neg_lo:[0,0,1] neg_hi:[0,0,1]
	;; [unrolled: 1-line block ×3, first 2 shown]
	v_pk_add_f32 v[26:27], v[4:5], v[30:31] neg_lo:[0,1] neg_hi:[0,1]
	v_lshl_add_u32 v130, v41, 3, v68
	v_lshl_add_u32 v131, v42, 3, v68
	v_lshl_add_u32 v132, v43, 3, v68
	v_add_u32_e32 v44, 0x3d4, v10
	v_add_u32_e32 v45, 0x498, v10
	v_pk_fma_f32 v[24:25], v[4:5], 2.0, v[26:27] op_sel_hi:[1,0,1] neg_lo:[0,0,1] neg_hi:[0,0,1]
	s_barrier
	ds_write_b128 v129, v[12:15]
	ds_write_b128 v87, v[6:9]
	;; [unrolled: 1-line block ×5, first 2 shown]
	v_lshl_add_u32 v133, v44, 3, v68
	v_lshl_add_u32 v134, v45, 3, v68
	v_lshlrev_b32_e32 v0, 3, v46
	ds_write_b128 v133, v[16:19]
	ds_write_b128 v134, v[24:27]
	s_waitcnt lgkmcnt(0)
	s_barrier
	global_load_dwordx2 v[112:113], v0, s[10:11]
	ds_read2_b64 v[0:3], v123 offset0:152 offset1:250
	ds_read2_b64 v[4:7], v125 offset0:84 offset1:182
	s_mov_b32 s20, 0x3f5ff5aa
	s_mov_b32 s12, 0x3f3bfb3b
	s_load_dwordx2 s[0:1], s[0:1], 0x38
	s_waitcnt vmcnt(0) lgkmcnt(0)
	v_pk_mul_f32 v[8:9], v[2:3], v[112:113] op_sel:[0,1]
	s_nop 0
	v_pk_fma_f32 v[14:15], v[2:3], v[112:113], v[8:9] op_sel:[0,0,1] op_sel_hi:[1,1,0] neg_lo:[0,0,1] neg_hi:[0,0,1]
	v_pk_fma_f32 v[16:17], v[2:3], v[112:113], v[8:9] op_sel:[0,0,1] op_sel_hi:[1,0,0]
	v_pk_mul_f32 v[2:3], v[0:1], v[112:113] op_sel:[0,1]
	v_pk_mul_f32 v[8:9], v[6:7], v[112:113] op_sel:[0,1]
	v_pk_fma_f32 v[18:19], v[0:1], v[112:113], v[2:3] op_sel:[0,0,1] op_sel_hi:[1,1,0] neg_lo:[0,0,1] neg_hi:[0,0,1]
	v_pk_fma_f32 v[20:21], v[0:1], v[112:113], v[2:3] op_sel:[0,0,1] op_sel_hi:[1,0,0]
	ds_read2_b64 v[0:3], v127 offset0:16 offset1:114
	v_pk_fma_f32 v[22:23], v[6:7], v[112:113], v[8:9] op_sel:[0,0,1] op_sel_hi:[1,1,0] neg_lo:[0,0,1] neg_hi:[0,0,1]
	v_pk_fma_f32 v[24:25], v[6:7], v[112:113], v[8:9] op_sel:[0,0,1] op_sel_hi:[1,0,0]
	v_pk_mul_f32 v[6:7], v[4:5], v[112:113] op_sel:[0,1]
	v_lshlrev_b32_e32 v15, 1, v40
	v_pk_fma_f32 v[26:27], v[4:5], v[112:113], v[6:7] op_sel:[0,0,1] op_sel_hi:[1,1,0] neg_lo:[0,0,1] neg_hi:[0,0,1]
	v_pk_fma_f32 v[28:29], v[4:5], v[112:113], v[6:7] op_sel:[0,0,1] op_sel_hi:[1,0,0]
	ds_read2_b64 v[4:7], v128 offset0:76 offset1:174
	s_waitcnt lgkmcnt(1)
	v_pk_mul_f32 v[8:9], v[2:3], v[112:113] op_sel:[0,1]
	v_mov_b32_e32 v27, v29
	v_pk_fma_f32 v[30:31], v[2:3], v[112:113], v[8:9] op_sel:[0,0,1] op_sel_hi:[1,1,0] neg_lo:[0,0,1] neg_hi:[0,0,1]
	v_pk_fma_f32 v[32:33], v[2:3], v[112:113], v[8:9] op_sel:[0,0,1] op_sel_hi:[1,0,0]
	v_pk_mul_f32 v[2:3], v[0:1], v[112:113] op_sel:[0,1]
	v_mov_b32_e32 v31, v33
	v_pk_fma_f32 v[34:35], v[0:1], v[112:113], v[2:3] op_sel:[0,0,1] op_sel_hi:[1,1,0] neg_lo:[0,0,1] neg_hi:[0,0,1]
	v_pk_fma_f32 v[36:37], v[0:1], v[112:113], v[2:3] op_sel:[0,0,1] op_sel_hi:[1,0,0]
	s_waitcnt lgkmcnt(0)
	v_pk_mul_f32 v[0:1], v[6:7], v[112:113] op_sel:[0,1]
	v_mov_b32_e32 v35, v37
	v_pk_fma_f32 v[8:9], v[6:7], v[112:113], v[0:1] op_sel:[0,0,1] op_sel_hi:[1,1,0] neg_lo:[0,0,1] neg_hi:[0,0,1]
	v_pk_fma_f32 v[6:7], v[6:7], v[112:113], v[0:1] op_sel:[0,0,1] op_sel_hi:[1,0,0]
	ds_read2_b64 v[0:3], v79 offset1:98
	v_mov_b32_e32 v9, v7
	v_and_or_b32 v6, v10, s2, v46
	v_lshl_add_u32 v135, v6, 3, v68
	s_movk_i32 s2, 0x1fc
	s_waitcnt lgkmcnt(0)
	v_pk_add_f32 v[38:39], v[0:1], v[8:9] neg_lo:[0,1] neg_hi:[0,1]
	ds_read2_b64 v[6:9], v124 offset0:136 offset1:234
	ds_read2_b64 v[10:13], v126 offset0:68 offset1:166
	v_pk_fma_f32 v[0:1], v[0:1], 2.0, v[38:39] op_sel_hi:[1,0,1] neg_lo:[0,0,1] neg_hi:[0,0,1]
	s_waitcnt lgkmcnt(0)
	s_barrier
	ds_write2_b64 v135, v[0:1], v[38:39] offset1:2
	v_pk_add_f32 v[0:1], v[2:3], v[34:35] neg_lo:[0,1] neg_hi:[0,1]
	v_and_or_b32 v15, v15, s2, v46
	v_pk_fma_f32 v[2:3], v[2:3], 2.0, v[0:1] op_sel_hi:[1,0,1] neg_lo:[0,0,1] neg_hi:[0,0,1]
	v_lshl_add_u32 v136, v15, 3, v68
	s_movk_i32 s2, 0x3fc
	ds_write2_b64 v136, v[2:3], v[0:1] offset1:2
	v_and_or_b32 v0, v41, s2, v46
	v_lshl_add_u32 v137, v0, 3, v68
	v_pk_add_f32 v[0:1], v[10:11], v[30:31] neg_lo:[0,1] neg_hi:[0,1]
	v_mov_b32_e32 v23, v25
	v_pk_fma_f32 v[2:3], v[10:11], 2.0, v[0:1] op_sel_hi:[1,0,1] neg_lo:[0,0,1] neg_hi:[0,0,1]
	ds_write2_b64 v137, v[2:3], v[0:1] offset1:2
	v_pk_add_f32 v[0:1], v[12:13], v[26:27] neg_lo:[0,1] neg_hi:[0,1]
	v_and_or_b32 v10, v42, s2, v46
	v_pk_fma_f32 v[2:3], v[12:13], 2.0, v[0:1] op_sel_hi:[1,0,1] neg_lo:[0,0,1] neg_hi:[0,0,1]
	v_lshl_add_u32 v138, v10, 3, v68
	s_movk_i32 s2, 0x7fc
	ds_write2_b64 v138, v[2:3], v[0:1] offset1:2
	v_and_or_b32 v0, v43, s2, v46
	v_lshl_add_u32 v139, v0, 3, v68
	v_pk_add_f32 v[0:1], v[6:7], v[22:23] neg_lo:[0,1] neg_hi:[0,1]
	v_mov_b32_e32 v19, v21
	v_pk_fma_f32 v[2:3], v[6:7], 2.0, v[0:1] op_sel_hi:[1,0,1] neg_lo:[0,0,1] neg_hi:[0,0,1]
	ds_write2_b64 v139, v[2:3], v[0:1] offset1:2
	v_pk_add_f32 v[0:1], v[8:9], v[18:19] neg_lo:[0,1] neg_hi:[0,1]
	v_and_or_b32 v6, v44, s2, v46
	v_pk_fma_f32 v[2:3], v[8:9], 2.0, v[0:1] op_sel_hi:[1,0,1] neg_lo:[0,0,1] neg_hi:[0,0,1]
	v_lshl_add_u32 v140, v6, 3, v68
	v_mov_b32_e32 v15, v17
	ds_write2_b64 v140, v[2:3], v[0:1] offset1:2
	v_pk_add_f32 v[0:1], v[4:5], v[14:15] neg_lo:[0,1] neg_hi:[0,1]
	s_movk_i32 s2, 0x5fc
	v_pk_fma_f32 v[2:3], v[4:5], 2.0, v[0:1] op_sel_hi:[1,0,1] neg_lo:[0,0,1] neg_hi:[0,0,1]
	v_and_or_b32 v4, v45, s2, v46
	v_and_b32_e32 v41, 3, v40
	v_lshl_add_u32 v141, v4, 3, v68
	v_mad_u64_u32 v[20:21], s[2:3], v41, 48, s[10:11]
	ds_write2_b64 v141, v[2:3], v[0:1] offset1:2
	s_waitcnt lgkmcnt(0)
	s_barrier
	global_load_dwordx4 v[0:3], v[20:21], off offset:48
	v_mad_u64_u32 v[22:23], s[2:3], v69, 48, s[10:11]
	global_load_dwordx4 v[4:7], v[22:23], off offset:48
	global_load_dwordx4 v[12:15], v[20:21], off offset:16
	;; [unrolled: 1-line block ×4, first 2 shown]
	ds_read2_b64 v[24:27], v123 offset0:152 offset1:250
	global_load_dwordx4 v[20:23], v[20:21], off offset:32
	s_mov_b32 s2, s7
	s_mov_b32 s3, s6
	s_waitcnt vmcnt(5) lgkmcnt(0)
	v_pk_mul_f32 v[28:29], v[26:27], v[2:3] op_sel_hi:[1,0]
	v_mov_b32_e32 v30, v3
	v_pk_fma_f32 v[44:45], v[26:27], v[30:31], v[28:29] op_sel:[0,0,1] op_sel_hi:[1,0,0]
	v_pk_fma_f32 v[42:43], v[26:27], v[30:31], v[28:29] op_sel:[0,0,1] op_sel_hi:[1,0,0] neg_lo:[1,0,0] neg_hi:[1,0,0]
	ds_read2_b64 v[26:29], v126 offset0:68 offset1:166
	s_waitcnt vmcnt(4)
	v_pk_mul_f32 v[30:31], v[24:25], v[6:7] op_sel_hi:[1,0]
	v_mov_b32_e32 v32, v7
	v_pk_fma_f32 v[36:37], v[24:25], v[32:33], v[30:31] op_sel:[0,0,1] op_sel_hi:[1,0,0]
	v_pk_fma_f32 v[50:51], v[24:25], v[32:33], v[30:31] op_sel:[0,0,1] op_sel_hi:[1,0,0] neg_lo:[1,0,0] neg_hi:[1,0,0]
	s_waitcnt vmcnt(3) lgkmcnt(0)
	v_pk_mul_f32 v[24:25], v[28:29], v[12:13] op_sel_hi:[1,0]
	v_mov_b32_e32 v37, v51
	v_pk_fma_f32 v[48:49], v[28:29], v[12:13], v[24:25] op_sel:[0,1,1] op_sel_hi:[1,1,0]
	v_pk_fma_f32 v[46:47], v[28:29], v[12:13], v[24:25] op_sel:[0,1,1] op_sel_hi:[1,1,0] neg_lo:[1,0,0] neg_hi:[1,0,0]
	s_waitcnt vmcnt(2)
	v_pk_mul_f32 v[24:25], v[26:27], v[16:17] op_sel_hi:[1,0]
	v_mov_b32_e32 v38, v19
	v_pk_fma_f32 v[28:29], v[26:27], v[16:17], v[24:25] op_sel:[0,1,1] op_sel_hi:[1,1,0]
	v_pk_fma_f32 v[30:31], v[26:27], v[16:17], v[24:25] op_sel:[0,1,1] op_sel_hi:[1,1,0] neg_lo:[1,0,0] neg_hi:[1,0,0]
	ds_read2_b64 v[32:35], v124 offset0:136 offset1:234
	ds_read2_b64 v[24:27], v127 offset0:16 offset1:114
	v_mov_b32_e32 v29, v31
	v_pk_add_f32 v[54:55], v[28:29], v[36:37]
	v_pk_add_f32 v[56:57], v[28:29], v[36:37] neg_lo:[0,1] neg_hi:[0,1]
	s_waitcnt lgkmcnt(1)
	v_mov_b32_e32 v28, v33
	v_mul_f32_e32 v42, v33, v19
	s_waitcnt lgkmcnt(0)
	v_mov_b32_e32 v33, v25
	s_waitcnt vmcnt(1)
	v_mov_b32_e32 v39, v11
	v_mov_b32_e32 v29, v24
	;; [unrolled: 1-line block ×4, first 2 shown]
	v_pk_mul_f32 v[38:39], v[32:33], v[38:39]
	v_mov_b32_e32 v60, v31
	v_pk_fma_f32 v[52:53], v[28:29], v[36:37], v[38:39] neg_lo:[0,0,1] neg_hi:[0,0,1]
	v_pk_fma_f32 v[58:59], v[28:29], v[18:19], v[38:39]
	ds_read2_b64 v[36:39], v125 offset0:84 offset1:182
	ds_read2_b64 v[28:31], v128 offset0:76 offset1:174
	v_mul_f32_e32 v61, v25, v10
	v_mov_b32_e32 v50, v51
	v_mul_f32_e32 v51, v24, v11
	s_waitcnt lgkmcnt(1)
	v_mov_b32_e32 v24, v37
	v_mul_f32_e32 v33, v37, v5
	s_waitcnt lgkmcnt(0)
	v_mov_b32_e32 v37, v29
	v_mov_b32_e32 v62, v5
	;; [unrolled: 1-line block ×3, first 2 shown]
	v_pk_add_f32 v[60:61], v[60:61], v[50:51]
	v_mov_b32_e32 v25, v28
	v_mov_b32_e32 v50, v4
	;; [unrolled: 1-line block ×3, first 2 shown]
	v_pk_mul_f32 v[62:63], v[36:37], v[62:63]
	v_mov_b32_e32 v59, v53
	v_pk_fma_f32 v[50:51], v[24:25], v[50:51], v[62:63] neg_lo:[0,0,1] neg_hi:[0,0,1]
	v_pk_fma_f32 v[24:25], v[24:25], v[4:5], v[62:63]
	v_mul_f32_e32 v29, v29, v8
	v_mov_b32_e32 v25, v51
	v_pk_add_f32 v[62:63], v[58:59], v[24:25]
	v_pk_add_f32 v[58:59], v[58:59], v[24:25] neg_lo:[0,1] neg_hi:[0,1]
	v_fma_f32 v25, v32, v18, -v42
	v_fma_f32 v32, v36, v4, -v33
	v_mul_f32_e32 v33, v28, v9
	v_mov_b32_e32 v28, v25
	v_pk_add_f32 v[36:37], v[28:29], v[32:33]
	v_mov_b32_e32 v24, v61
	v_mov_b32_e32 v29, v32
	v_mov_b32_e32 v28, v37
	v_pk_add_f32 v[32:33], v[24:25], v[28:29] neg_lo:[0,1] neg_hi:[0,1]
	v_mov_b32_e32 v24, v53
	v_mov_b32_e32 v25, v54
	;; [unrolled: 1-line block ×4, first 2 shown]
	v_pk_add_f32 v[24:25], v[28:29], v[24:25]
	v_mov_b32_e32 v28, v56
	v_mov_b32_e32 v29, v59
	v_pk_add_f32 v[50:51], v[36:37], v[60:61]
	v_pk_add_f32 v[64:65], v[28:29], v[32:33] neg_lo:[0,1] neg_hi:[0,1]
	v_mov_b32_e32 v28, v32
	v_mov_b32_e32 v29, v57
	;; [unrolled: 1-line block ×4, first 2 shown]
	v_pk_add_f32 v[72:73], v[50:51], v[24:25]
	ds_read2_b64 v[50:53], v79 offset1:98
	v_pk_add_f32 v[28:29], v[28:29], v[58:59] neg_lo:[0,1] neg_hi:[0,1]
	v_mov_b32_e32 v25, v62
	v_pk_mul_f32 v[66:67], v[28:29], s[18:19]
	v_pk_add_f32 v[28:29], v[58:59], v[32:33]
	v_pk_add_f32 v[74:75], v[60:61], v[24:25] neg_lo:[0,1] neg_hi:[0,1]
	v_pk_add_f32 v[70:71], v[28:29], v[56:57]
	v_mov_b32_e32 v28, v24
	v_mov_b32_e32 v29, v54
	v_pk_add_f32 v[28:29], v[28:29], v[36:37] neg_lo:[0,1] neg_hi:[0,1]
	s_waitcnt lgkmcnt(0)
	v_pk_add_f32 v[50:51], v[50:51], v[72:73]
	v_pk_mul_f32 v[116:117], v[28:29], s[6:7]
	v_pk_fma_f32 v[72:73], v[72:73], s[8:9], v[50:51] op_sel_hi:[1,0,1] neg_lo:[1,0,0] neg_hi:[1,0,0]
	v_pk_fma_f32 v[24:25], v[74:75], s[2:3], v[116:117]
	v_lshrrev_b32_e32 v32, 2, v86
	v_pk_add_f32 v[28:29], v[24:25], v[72:73]
	v_pk_fma_f32 v[24:25], v[64:65], s[16:17], v[66:67]
	v_mul_u32_u24_e32 v32, 28, v32
	v_pk_fma_f32 v[118:119], v[70:71], s[14:15], v[24:25] op_sel_hi:[1,0,1]
	v_or_b32_e32 v32, v32, v69
	v_pk_add_f32 v[24:25], v[28:29], v[118:119]
	v_pk_add_f32 v[28:29], v[28:29], v[118:119] neg_lo:[0,1] neg_hi:[0,1]
	v_lshl_add_u32 v142, v32, 3, v68
	v_mov_b32_e32 v118, v24
	v_mov_b32_e32 v119, v29
	s_barrier
	ds_write2_b64 v142, v[50:51], v[118:119] offset1:4
	v_mov_b32_e32 v61, v54
	v_mov_b32_e32 v59, v33
	;; [unrolled: 1-line block ×3, first 2 shown]
	v_pk_mul_f32 v[50:51], v[64:65], s[16:17]
	v_pk_mul_f32 v[54:55], v[74:75], s[2:3]
	v_pk_add_f32 v[32:33], v[58:59], v[56:57] neg_lo:[0,1] neg_hi:[0,1]
	v_pk_add_f32 v[36:37], v[36:37], v[60:61] neg_lo:[0,1] neg_hi:[0,1]
	v_mov_b32_e32 v56, v54
	v_mov_b32_e32 v57, v117
	;; [unrolled: 1-line block ×6, first 2 shown]
	v_pk_fma_f32 v[56:57], v[36:37], s[12:13], v[56:57] op_sel_hi:[1,0,1] neg_lo:[1,0,1] neg_hi:[1,0,1]
	v_pk_fma_f32 v[58:59], v[32:33], s[20:21], v[58:59] op_sel_hi:[1,0,1] neg_lo:[1,0,1] neg_hi:[1,0,1]
	;; [unrolled: 1-line block ×4, first 2 shown]
	v_pk_add_f32 v[56:57], v[56:57], v[72:73]
	v_pk_fma_f32 v[58:59], v[70:71], s[14:15], v[58:59] op_sel_hi:[1,0,1]
	v_pk_add_f32 v[36:37], v[36:37], v[72:73]
	v_pk_fma_f32 v[32:33], v[70:71], s[14:15], v[32:33] op_sel_hi:[1,0,1]
	v_pk_add_f32 v[60:61], v[56:57], v[58:59]
	v_pk_add_f32 v[56:57], v[56:57], v[58:59] neg_lo:[0,1] neg_hi:[0,1]
	v_pk_add_f32 v[50:51], v[36:37], v[32:33] neg_lo:[0,1] neg_hi:[0,1]
	v_pk_add_f32 v[32:33], v[36:37], v[32:33]
	v_mov_b32_e32 v36, v60
	v_mov_b32_e32 v37, v57
	;; [unrolled: 1-line block ×6, first 2 shown]
	ds_write2_b64 v142, v[36:37], v[54:55] offset0:8 offset1:12
	ds_write2_b64 v142, v[32:33], v[56:57] offset0:16 offset1:20
	v_mul_f32_e32 v24, v35, v15
	v_mov_b32_e32 v32, v35
	v_mov_b32_e32 v35, v27
	;; [unrolled: 1-line block ×3, first 2 shown]
	s_waitcnt vmcnt(0)
	v_mov_b32_e32 v37, v23
	v_pk_mul_f32 v[36:37], v[34:35], v[36:37]
	v_fma_f32 v35, v34, v14, -v24
	v_mul_f32_e32 v24, v39, v1
	v_mov_b32_e32 v42, v39
	v_mov_b32_e32 v39, v31
	;; [unrolled: 1-line block ×9, first 2 shown]
	v_pk_mul_f32 v[50:51], v[38:39], v[50:51]
	v_pk_add_f32 v[54:55], v[48:49], v[44:45]
	v_pk_add_f32 v[44:45], v[48:49], v[44:45] neg_lo:[0,1] neg_hi:[0,1]
	v_pk_fma_f32 v[56:57], v[32:33], v[56:57], v[36:37] neg_lo:[0,0,1] neg_hi:[0,0,1]
	v_pk_fma_f32 v[32:33], v[32:33], v[14:15], v[36:37]
	v_mov_b32_e32 v48, v43
	v_mov_b32_e32 v43, v30
	;; [unrolled: 1-line block ×4, first 2 shown]
	v_fma_f32 v38, v38, v0, -v24
	v_mul_f32_e32 v27, v27, v22
	v_mul_f32_e32 v49, v26, v23
	v_mov_b32_e32 v26, v47
	v_mul_f32_e32 v39, v30, v21
	v_mul_f32_e32 v31, v31, v20
	v_pk_fma_f32 v[36:37], v[42:43], v[36:37], v[50:51] neg_lo:[0,0,1] neg_hi:[0,0,1]
	v_pk_fma_f32 v[42:43], v[42:43], v[0:1], v[50:51]
	v_mov_b32_e32 v30, v35
	v_pk_add_f32 v[26:27], v[26:27], v[48:49]
	v_mov_b32_e32 v33, v57
	v_mov_b32_e32 v43, v37
	v_pk_add_f32 v[30:31], v[30:31], v[38:39]
	v_pk_add_f32 v[46:47], v[32:33], v[42:43]
	v_mov_b32_e32 v34, v27
	v_mov_b32_e32 v39, v38
	;; [unrolled: 1-line block ×3, first 2 shown]
	v_pk_add_f32 v[34:35], v[34:35], v[38:39] neg_lo:[0,1] neg_hi:[0,1]
	v_mov_b32_e32 v38, v57
	v_mov_b32_e32 v39, v54
	;; [unrolled: 1-line block ×4, first 2 shown]
	v_pk_add_f32 v[36:37], v[36:37], v[38:39]
	v_pk_add_f32 v[38:39], v[30:31], v[26:27]
	v_pk_add_f32 v[32:33], v[32:33], v[42:43] neg_lo:[0,1] neg_hi:[0,1]
	v_mov_b32_e32 v31, v39
	v_mov_b32_e32 v50, v34
	;; [unrolled: 1-line block ×6, first 2 shown]
	v_pk_add_f32 v[38:39], v[38:39], v[36:37]
	v_mov_b32_e32 v48, v44
	v_mov_b32_e32 v49, v33
	v_pk_add_f32 v[50:51], v[50:51], v[32:33] neg_lo:[0,1] neg_hi:[0,1]
	v_pk_add_f32 v[56:57], v[56:57], v[30:31] neg_lo:[0,1] neg_hi:[0,1]
	v_mov_b32_e32 v37, v46
	v_pk_add_f32 v[42:43], v[52:53], v[38:39]
	v_pk_add_f32 v[48:49], v[48:49], v[34:35] neg_lo:[0,1] neg_hi:[0,1]
	v_pk_mul_f32 v[50:51], v[50:51], s[18:19]
	v_pk_add_f32 v[52:53], v[32:33], v[34:35]
	v_pk_add_f32 v[36:37], v[26:27], v[36:37] neg_lo:[0,1] neg_hi:[0,1]
	v_pk_mul_f32 v[56:57], v[56:57], s[6:7]
	v_pk_add_f32 v[52:53], v[52:53], v[44:45]
	v_pk_fma_f32 v[38:39], v[38:39], s[8:9], v[42:43] op_sel_hi:[1,0,1] neg_lo:[1,0,0] neg_hi:[1,0,0]
	v_pk_fma_f32 v[58:59], v[36:37], s[2:3], v[56:57]
	v_pk_fma_f32 v[60:61], v[48:49], s[16:17], v[50:51]
	v_lshrrev_b32_e32 v24, 2, v40
	v_pk_add_f32 v[58:59], v[58:59], v[38:39]
	v_pk_fma_f32 v[60:61], v[52:53], s[14:15], v[60:61] op_sel_hi:[1,0,1]
	v_mul_u32_u24_e32 v24, 28, v24
	v_pk_add_f32 v[62:63], v[58:59], v[60:61]
	v_pk_add_f32 v[58:59], v[58:59], v[60:61] neg_lo:[0,1] neg_hi:[0,1]
	v_mov_b32_e32 v29, v25
	v_or_b32_e32 v24, v24, v41
	v_mov_b32_e32 v27, v54
	v_mov_b32_e32 v31, v46
	ds_write_b64 v142, v[28:29] offset:192
	v_lshl_add_u32 v143, v24, 3, v68
	v_mov_b32_e32 v24, v62
	v_mov_b32_e32 v25, v59
	;; [unrolled: 1-line block ×3, first 2 shown]
	v_pk_add_f32 v[26:27], v[30:31], v[26:27] neg_lo:[0,1] neg_hi:[0,1]
	v_pk_mul_f32 v[28:29], v[48:49], s[16:17]
	v_pk_mul_f32 v[30:31], v[36:37], s[2:3]
	ds_write2_b64 v143, v[42:43], v[24:25] offset1:4
	v_pk_add_f32 v[24:25], v[32:33], v[44:45] neg_lo:[0,1] neg_hi:[0,1]
	v_mov_b32_e32 v32, v30
	v_mov_b32_e32 v33, v57
	;; [unrolled: 1-line block ×6, first 2 shown]
	v_pk_fma_f32 v[32:33], v[26:27], s[12:13], v[32:33] op_sel_hi:[1,0,1] neg_lo:[1,0,1] neg_hi:[1,0,1]
	v_pk_fma_f32 v[34:35], v[24:25], s[20:21], v[34:35] op_sel_hi:[1,0,1] neg_lo:[1,0,1] neg_hi:[1,0,1]
	;; [unrolled: 1-line block ×4, first 2 shown]
	v_pk_add_f32 v[32:33], v[32:33], v[38:39]
	v_pk_fma_f32 v[34:35], v[52:53], s[14:15], v[34:35] op_sel_hi:[1,0,1]
	v_pk_add_f32 v[26:27], v[26:27], v[38:39]
	v_pk_fma_f32 v[24:25], v[52:53], s[14:15], v[24:25] op_sel_hi:[1,0,1]
	v_pk_add_f32 v[36:37], v[32:33], v[34:35]
	v_pk_add_f32 v[32:33], v[32:33], v[34:35] neg_lo:[0,1] neg_hi:[0,1]
	v_pk_add_f32 v[28:29], v[26:27], v[24:25] neg_lo:[0,1] neg_hi:[0,1]
	v_pk_add_f32 v[24:25], v[26:27], v[24:25]
	v_mov_b32_e32 v27, v33
	v_mov_b32_e32 v31, v25
	;; [unrolled: 1-line block ×4, first 2 shown]
	ds_write2_b64 v143, v[24:25], v[32:33] offset0:16 offset1:20
	v_lshrrev_b16_e32 v24, 2, v40
	v_and_b32_e32 v24, 63, v24
	v_mov_b32_e32 v30, v28
	v_mul_lo_u16_e32 v69, 37, v24
	v_mov_b32_e32 v28, 28
	v_mul_lo_u16_sdwa v24, v69, v28 dst_sel:DWORD dst_unused:UNUSED_PAD src0_sel:BYTE_1 src1_sel:DWORD
	v_sub_u16_e32 v24, v40, v24
	v_and_b32_e32 v70, 0xff, v24
	v_mov_b32_e32 v26, v36
	v_mov_b32_e32 v59, v63
	v_mad_u64_u32 v[44:45], s[22:23], v70, 48, s[10:11]
	ds_write2_b64 v143, v[26:27], v[30:31] offset0:8 offset1:12
	ds_write_b64 v143, v[58:59] offset:192
	s_waitcnt lgkmcnt(0)
	s_barrier
	global_load_dwordx4 v[24:27], v[44:45], off offset:240
	v_lshrrev_b16_e32 v29, 2, v86
	v_and_b32_e32 v29, 63, v29
	v_mul_lo_u16_e32 v71, 37, v29
	v_mul_lo_u16_sdwa v28, v71, v28 dst_sel:DWORD dst_unused:UNUSED_PAD src0_sel:BYTE_1 src1_sel:DWORD
	v_sub_u16_e32 v28, v86, v28
	v_and_b32_e32 v166, 0xff, v28
	v_mad_u64_u32 v[46:47], s[22:23], v166, 48, s[10:11]
	global_load_dwordx4 v[28:31], v[46:47], off offset:240
	global_load_dwordx4 v[36:39], v[44:45], off offset:208
	;; [unrolled: 1-line block ×4, first 2 shown]
	ds_read2_b64 v[48:51], v123 offset0:152 offset1:250
	global_load_dwordx4 v[44:47], v[44:45], off offset:224
	s_waitcnt vmcnt(5) lgkmcnt(0)
	v_pk_mul_f32 v[52:53], v[50:51], v[26:27] op_sel_hi:[1,0]
	v_mov_b32_e32 v54, v27
	v_pk_fma_f32 v[62:63], v[50:51], v[54:55], v[52:53] op_sel:[0,0,1] op_sel_hi:[1,0,0]
	v_pk_fma_f32 v[60:61], v[50:51], v[54:55], v[52:53] op_sel:[0,0,1] op_sel_hi:[1,0,0] neg_lo:[1,0,0] neg_hi:[1,0,0]
	ds_read2_b64 v[50:53], v126 offset0:68 offset1:166
	v_mov_b32_e32 v63, v61
	s_waitcnt vmcnt(4)
	v_pk_mul_f32 v[54:55], v[48:49], v[30:31] op_sel_hi:[1,0]
	v_mov_b32_e32 v56, v31
	v_pk_fma_f32 v[72:73], v[48:49], v[56:57], v[54:55] op_sel:[0,0,1] op_sel_hi:[1,0,0]
	v_pk_fma_f32 v[116:117], v[48:49], v[56:57], v[54:55] op_sel:[0,0,1] op_sel_hi:[1,0,0] neg_lo:[1,0,0] neg_hi:[1,0,0]
	s_waitcnt vmcnt(3) lgkmcnt(0)
	v_pk_mul_f32 v[48:49], v[52:53], v[36:37] op_sel_hi:[1,0]
	v_mov_b32_e32 v73, v117
	v_pk_fma_f32 v[66:67], v[52:53], v[36:37], v[48:49] op_sel:[0,1,1] op_sel_hi:[1,1,0]
	v_pk_fma_f32 v[64:65], v[52:53], v[36:37], v[48:49] op_sel:[0,1,1] op_sel_hi:[1,1,0] neg_lo:[1,0,0] neg_hi:[1,0,0]
	s_waitcnt vmcnt(2)
	v_pk_mul_f32 v[48:49], v[50:51], v[40:41] op_sel_hi:[1,0]
	v_mov_b32_e32 v74, v43
	v_pk_fma_f32 v[52:53], v[50:51], v[40:41], v[48:49] op_sel:[0,1,1] op_sel_hi:[1,1,0]
	v_pk_fma_f32 v[54:55], v[50:51], v[40:41], v[48:49] op_sel:[0,1,1] op_sel_hi:[1,1,0] neg_lo:[1,0,0] neg_hi:[1,0,0]
	ds_read2_b64 v[56:59], v124 offset0:136 offset1:234
	ds_read2_b64 v[48:51], v127 offset0:16 offset1:114
	v_mov_b32_e32 v53, v55
	v_pk_add_f32 v[120:121], v[52:53], v[72:73]
	v_pk_add_f32 v[146:147], v[52:53], v[72:73] neg_lo:[0,1] neg_hi:[0,1]
	s_waitcnt lgkmcnt(1)
	v_mov_b32_e32 v52, v57
	v_mul_f32_e32 v60, v57, v43
	s_waitcnt lgkmcnt(0)
	v_mov_b32_e32 v57, v49
	s_waitcnt vmcnt(1)
	v_mov_b32_e32 v75, v35
	v_mov_b32_e32 v53, v48
	;; [unrolled: 1-line block ×4, first 2 shown]
	v_pk_mul_f32 v[74:75], v[56:57], v[74:75]
	v_mov_b32_e32 v148, v55
	v_pk_fma_f32 v[118:119], v[52:53], v[72:73], v[74:75] neg_lo:[0,0,1] neg_hi:[0,0,1]
	v_pk_fma_f32 v[144:145], v[52:53], v[42:43], v[74:75]
	ds_read2_b64 v[72:75], v125 offset0:84 offset1:182
	ds_read2_b64 v[52:55], v128 offset0:76 offset1:174
	v_mul_f32_e32 v149, v49, v34
	v_mov_b32_e32 v116, v117
	v_mul_f32_e32 v117, v48, v35
	s_waitcnt lgkmcnt(1)
	v_mov_b32_e32 v48, v73
	v_mul_f32_e32 v57, v73, v29
	s_waitcnt lgkmcnt(0)
	v_mov_b32_e32 v73, v53
	v_mov_b32_e32 v150, v29
	;; [unrolled: 1-line block ×3, first 2 shown]
	v_pk_add_f32 v[148:149], v[148:149], v[116:117]
	v_mov_b32_e32 v49, v52
	v_mov_b32_e32 v116, v28
	v_mov_b32_e32 v117, v32
	v_pk_mul_f32 v[150:151], v[72:73], v[150:151]
	v_mov_b32_e32 v145, v119
	v_pk_fma_f32 v[116:117], v[48:49], v[116:117], v[150:151] neg_lo:[0,0,1] neg_hi:[0,0,1]
	v_pk_fma_f32 v[48:49], v[48:49], v[28:29], v[150:151]
	v_mul_f32_e32 v53, v53, v32
	v_mov_b32_e32 v49, v117
	v_pk_add_f32 v[150:151], v[144:145], v[48:49]
	v_pk_add_f32 v[152:153], v[144:145], v[48:49] neg_lo:[0,1] neg_hi:[0,1]
	v_fma_f32 v49, v56, v42, -v60
	v_fma_f32 v56, v72, v28, -v57
	v_mul_f32_e32 v57, v52, v33
	v_mov_b32_e32 v52, v49
	v_pk_add_f32 v[72:73], v[52:53], v[56:57]
	v_mov_b32_e32 v48, v149
	v_mov_b32_e32 v53, v56
	;; [unrolled: 1-line block ×3, first 2 shown]
	v_pk_add_f32 v[56:57], v[48:49], v[52:53] neg_lo:[0,1] neg_hi:[0,1]
	v_mov_b32_e32 v48, v119
	v_mov_b32_e32 v49, v120
	v_mov_b32_e32 v52, v117
	v_mov_b32_e32 v53, v150
	v_pk_add_f32 v[48:49], v[52:53], v[48:49]
	v_mov_b32_e32 v52, v146
	v_mov_b32_e32 v53, v153
	v_pk_add_f32 v[116:117], v[72:73], v[148:149]
	v_pk_add_f32 v[154:155], v[52:53], v[56:57] neg_lo:[0,1] neg_hi:[0,1]
	v_mov_b32_e32 v52, v56
	v_mov_b32_e32 v53, v147
	;; [unrolled: 1-line block ×4, first 2 shown]
	v_pk_add_f32 v[144:145], v[116:117], v[48:49]
	ds_read2_b64 v[116:119], v79 offset1:98
	v_pk_add_f32 v[52:53], v[52:53], v[152:153] neg_lo:[0,1] neg_hi:[0,1]
	v_mov_b32_e32 v49, v150
	v_pk_mul_f32 v[156:157], v[52:53], s[18:19]
	v_pk_add_f32 v[52:53], v[152:153], v[56:57]
	v_pk_add_f32 v[160:161], v[148:149], v[48:49] neg_lo:[0,1] neg_hi:[0,1]
	v_pk_add_f32 v[158:159], v[52:53], v[146:147]
	v_mov_b32_e32 v52, v48
	v_mov_b32_e32 v53, v120
	v_pk_add_f32 v[52:53], v[52:53], v[72:73] neg_lo:[0,1] neg_hi:[0,1]
	s_waitcnt lgkmcnt(0)
	v_pk_add_f32 v[116:117], v[116:117], v[144:145]
	v_pk_mul_f32 v[162:163], v[52:53], s[6:7]
	v_pk_fma_f32 v[164:165], v[144:145], s[8:9], v[116:117] op_sel_hi:[1,0,1] neg_lo:[1,0,0] neg_hi:[1,0,0]
	v_pk_fma_f32 v[48:49], v[160:161], s[2:3], v[162:163]
	s_movk_i32 s9, 0xc4
	v_pk_add_f32 v[52:53], v[48:49], v[164:165]
	v_pk_fma_f32 v[48:49], v[154:155], s[16:17], v[156:157]
	v_mul_u32_u24_sdwa v56, v71, s9 dst_sel:DWORD dst_unused:UNUSED_PAD src0_sel:BYTE_1 src1_sel:DWORD
	v_pk_fma_f32 v[144:145], v[158:159], s[14:15], v[48:49] op_sel_hi:[1,0,1]
	v_add_u32_e32 v56, v56, v166
	v_pk_add_f32 v[48:49], v[52:53], v[144:145]
	v_pk_add_f32 v[52:53], v[52:53], v[144:145] neg_lo:[0,1] neg_hi:[0,1]
	v_lshl_add_u32 v144, v56, 3, v68
	v_mov_b32_e32 v166, v48
	v_mov_b32_e32 v167, v53
	s_barrier
	ds_write2_b64 v144, v[116:117], v[166:167] offset1:28
	v_mov_b32_e32 v149, v120
	v_mov_b32_e32 v153, v57
	;; [unrolled: 1-line block ×3, first 2 shown]
	v_pk_mul_f32 v[116:117], v[154:155], s[16:17]
	v_pk_mul_f32 v[120:121], v[160:161], s[2:3]
	v_pk_add_f32 v[56:57], v[152:153], v[146:147] neg_lo:[0,1] neg_hi:[0,1]
	v_pk_add_f32 v[72:73], v[72:73], v[148:149] neg_lo:[0,1] neg_hi:[0,1]
	v_mov_b32_e32 v146, v120
	v_mov_b32_e32 v147, v163
	;; [unrolled: 1-line block ×6, first 2 shown]
	v_pk_fma_f32 v[146:147], v[72:73], s[12:13], v[146:147] op_sel_hi:[1,0,1] neg_lo:[1,0,1] neg_hi:[1,0,1]
	v_pk_fma_f32 v[148:149], v[56:57], s[20:21], v[148:149] op_sel_hi:[1,0,1] neg_lo:[1,0,1] neg_hi:[1,0,1]
	;; [unrolled: 1-line block ×4, first 2 shown]
	v_pk_add_f32 v[146:147], v[146:147], v[164:165]
	v_pk_fma_f32 v[148:149], v[158:159], s[14:15], v[148:149] op_sel_hi:[1,0,1]
	v_pk_add_f32 v[72:73], v[72:73], v[164:165]
	v_pk_fma_f32 v[56:57], v[158:159], s[14:15], v[56:57] op_sel_hi:[1,0,1]
	v_pk_add_f32 v[150:151], v[146:147], v[148:149]
	v_pk_add_f32 v[146:147], v[146:147], v[148:149] neg_lo:[0,1] neg_hi:[0,1]
	v_pk_add_f32 v[116:117], v[72:73], v[56:57] neg_lo:[0,1] neg_hi:[0,1]
	v_pk_add_f32 v[56:57], v[72:73], v[56:57]
	v_mov_b32_e32 v72, v150
	v_mov_b32_e32 v73, v147
	;; [unrolled: 1-line block ×6, first 2 shown]
	ds_write2_b64 v144, v[72:73], v[120:121] offset0:56 offset1:84
	ds_write2_b64 v144, v[56:57], v[146:147] offset0:112 offset1:140
	v_mul_f32_e32 v48, v59, v39
	v_mov_b32_e32 v56, v59
	v_mov_b32_e32 v59, v51
	;; [unrolled: 1-line block ×3, first 2 shown]
	s_waitcnt vmcnt(0)
	v_mov_b32_e32 v73, v47
	v_pk_mul_f32 v[72:73], v[58:59], v[72:73]
	v_fma_f32 v59, v58, v38, -v48
	v_mul_f32_e32 v48, v75, v25
	v_mov_b32_e32 v60, v75
	v_mov_b32_e32 v75, v55
	;; [unrolled: 1-line block ×5, first 2 shown]
	v_pk_mul_f32 v[116:117], v[74:75], v[116:117]
	v_fma_f32 v64, v74, v24, -v48
	v_pk_add_f32 v[74:75], v[66:67], v[62:63]
	v_pk_add_f32 v[62:63], v[66:67], v[62:63] neg_lo:[0,1] neg_hi:[0,1]
	v_mov_b32_e32 v57, v50
	v_mul_f32_e32 v51, v51, v46
	v_mul_f32_e32 v67, v50, v47
	v_mov_b32_e32 v50, v65
	v_mov_b32_e32 v66, v61
	v_mov_b32_e32 v120, v38
	v_mov_b32_e32 v121, v46
	v_pk_add_f32 v[50:51], v[50:51], v[66:67]
	v_mov_b32_e32 v61, v54
	v_mov_b32_e32 v66, v24
	;; [unrolled: 1-line block ×3, first 2 shown]
	v_pk_fma_f32 v[120:121], v[56:57], v[120:121], v[72:73] neg_lo:[0,0,1] neg_hi:[0,0,1]
	v_pk_fma_f32 v[56:57], v[56:57], v[38:39], v[72:73]
	v_mul_f32_e32 v65, v54, v45
	v_mul_f32_e32 v55, v55, v44
	v_pk_fma_f32 v[66:67], v[60:61], v[66:67], v[116:117] neg_lo:[0,0,1] neg_hi:[0,0,1]
	v_pk_fma_f32 v[60:61], v[60:61], v[24:25], v[116:117]
	v_mov_b32_e32 v54, v59
	v_mov_b32_e32 v57, v121
	;; [unrolled: 1-line block ×3, first 2 shown]
	v_pk_add_f32 v[54:55], v[54:55], v[64:65]
	v_pk_add_f32 v[72:73], v[56:57], v[60:61]
	v_pk_add_f32 v[56:57], v[56:57], v[60:61] neg_lo:[0,1] neg_hi:[0,1]
	v_mov_b32_e32 v58, v51
	v_mov_b32_e32 v61, v64
	;; [unrolled: 1-line block ×3, first 2 shown]
	v_pk_add_f32 v[58:59], v[58:59], v[60:61] neg_lo:[0,1] neg_hi:[0,1]
	v_mov_b32_e32 v60, v121
	v_mov_b32_e32 v61, v74
	;; [unrolled: 1-line block ×4, first 2 shown]
	v_pk_add_f32 v[60:61], v[64:65], v[60:61]
	v_pk_add_f32 v[64:65], v[54:55], v[50:51]
	v_mov_b32_e32 v146, v60
	v_mov_b32_e32 v55, v65
	;; [unrolled: 1-line block ×3, first 2 shown]
	v_pk_add_f32 v[64:65], v[64:65], v[60:61]
	v_mov_b32_e32 v147, v74
	v_pk_add_f32 v[66:67], v[118:119], v[64:65]
	v_mov_b32_e32 v118, v58
	v_mov_b32_e32 v119, v63
	;; [unrolled: 1-line block ×4, first 2 shown]
	v_pk_add_f32 v[118:119], v[118:119], v[56:57] neg_lo:[0,1] neg_hi:[0,1]
	v_pk_add_f32 v[146:147], v[146:147], v[54:55] neg_lo:[0,1] neg_hi:[0,1]
	v_mov_b32_e32 v61, v72
	v_pk_add_f32 v[116:117], v[116:117], v[58:59] neg_lo:[0,1] neg_hi:[0,1]
	v_pk_mul_f32 v[118:119], v[118:119], s[18:19]
	v_pk_add_f32 v[120:121], v[56:57], v[58:59]
	v_pk_add_f32 v[60:61], v[50:51], v[60:61] neg_lo:[0,1] neg_hi:[0,1]
	v_pk_mul_f32 v[146:147], v[146:147], s[6:7]
	v_pk_add_f32 v[120:121], v[120:121], v[62:63]
	v_pk_fma_f32 v[64:65], v[64:65], s[8:9], v[66:67] op_sel_hi:[1,0,1] neg_lo:[1,0,0] neg_hi:[1,0,0]
	v_pk_fma_f32 v[148:149], v[60:61], s[2:3], v[146:147]
	v_pk_fma_f32 v[150:151], v[116:117], s[16:17], v[118:119]
	v_pk_add_f32 v[148:149], v[148:149], v[64:65]
	v_pk_fma_f32 v[150:151], v[120:121], s[14:15], v[150:151] op_sel_hi:[1,0,1]
	v_mul_u32_u24_sdwa v48, v69, s9 dst_sel:DWORD dst_unused:UNUSED_PAD src0_sel:BYTE_1 src1_sel:DWORD
	v_pk_add_f32 v[152:153], v[148:149], v[150:151]
	v_pk_add_f32 v[148:149], v[148:149], v[150:151] neg_lo:[0,1] neg_hi:[0,1]
	v_mov_b32_e32 v53, v49
	v_add_u32_e32 v48, v48, v70
	v_mov_b32_e32 v51, v74
	v_mov_b32_e32 v55, v72
	ds_write_b64 v144, v[52:53] offset:1344
	v_lshl_add_u32 v145, v48, 3, v68
	v_mov_b32_e32 v48, v152
	v_mov_b32_e32 v49, v149
	v_mov_b32_e32 v57, v59
	v_pk_add_f32 v[50:51], v[54:55], v[50:51] neg_lo:[0,1] neg_hi:[0,1]
	v_pk_mul_f32 v[52:53], v[116:117], s[16:17]
	v_pk_mul_f32 v[54:55], v[60:61], s[2:3]
	ds_write2_b64 v145, v[66:67], v[48:49] offset1:28
	v_pk_add_f32 v[48:49], v[56:57], v[62:63] neg_lo:[0,1] neg_hi:[0,1]
	v_mov_b32_e32 v56, v54
	v_mov_b32_e32 v57, v147
	;; [unrolled: 1-line block ×6, first 2 shown]
	v_pk_fma_f32 v[56:57], v[50:51], s[12:13], v[56:57] op_sel_hi:[1,0,1] neg_lo:[1,0,1] neg_hi:[1,0,1]
	v_pk_fma_f32 v[58:59], v[48:49], s[20:21], v[58:59] op_sel_hi:[1,0,1] neg_lo:[1,0,1] neg_hi:[1,0,1]
	;; [unrolled: 1-line block ×4, first 2 shown]
	v_pk_add_f32 v[56:57], v[56:57], v[64:65]
	v_pk_fma_f32 v[58:59], v[120:121], s[14:15], v[58:59] op_sel_hi:[1,0,1]
	v_pk_add_f32 v[50:51], v[50:51], v[64:65]
	v_pk_fma_f32 v[48:49], v[120:121], s[14:15], v[48:49] op_sel_hi:[1,0,1]
	v_pk_add_f32 v[60:61], v[56:57], v[58:59]
	v_pk_add_f32 v[56:57], v[56:57], v[58:59] neg_lo:[0,1] neg_hi:[0,1]
	v_pk_add_f32 v[52:53], v[50:51], v[48:49] neg_lo:[0,1] neg_hi:[0,1]
	v_pk_add_f32 v[48:49], v[50:51], v[48:49]
	v_mov_b32_e32 v51, v57
	v_mov_b32_e32 v55, v49
	;; [unrolled: 1-line block ×6, first 2 shown]
	ds_write2_b64 v145, v[48:49], v[56:57] offset0:112 offset1:140
	v_mov_b32_e32 v149, v153
	v_mad_u64_u32 v[56:57], s[10:11], v86, 48, s[10:11]
	ds_write2_b64 v145, v[50:51], v[54:55] offset0:56 offset1:84
	ds_write_b64 v145, v[148:149] offset:1344
	s_waitcnt lgkmcnt(0)
	s_barrier
	global_load_dwordx4 v[48:51], v[56:57], off offset:1584
	s_mov_b64 s[10:11], 0x1870
	v_lshl_add_u64 v[60:61], v[56:57], 0, s[10:11]
	global_load_dwordx4 v[52:55], v[60:61], off offset:32
	global_load_dwordx4 v[68:71], v[56:57], off offset:1552
	v_add_co_u32_e32 v58, vcc, s15, v56
	s_mov_b64 s[10:11], 0x2ae0
	s_nop 0
	v_addc_co_u32_e32 v59, vcc, 0, v57, vcc
	global_load_dwordx4 v[64:67], v[58:59], off offset:2160
	s_nop 0
	global_load_dwordx4 v[56:59], v[56:57], off offset:1568
	s_nop 0
	global_load_dwordx4 v[60:63], v[60:61], off offset:16
	ds_read2_b64 v[72:75], v123 offset0:152 offset1:250
	ds_read2_b64 v[146:149], v124 offset0:136 offset1:234
	s_waitcnt lgkmcnt(0)
	v_mov_b32_e32 v170, v147
	s_waitcnt vmcnt(5)
	v_pk_mul_f32 v[116:117], v[72:73], v[50:51] op_sel_hi:[1,0]
	v_mov_b32_e32 v118, v51
	v_pk_fma_f32 v[158:159], v[72:73], v[118:119], v[116:117] op_sel:[0,0,1] op_sel_hi:[1,0,0]
	v_pk_fma_f32 v[160:161], v[72:73], v[118:119], v[116:117] op_sel:[0,0,1] op_sel_hi:[1,0,0] neg_lo:[1,0,0] neg_hi:[1,0,0]
	ds_read2_b64 v[118:121], v126 offset0:68 offset1:166
	s_waitcnt vmcnt(4)
	v_pk_mul_f32 v[72:73], v[74:75], v[54:55] op_sel_hi:[1,0]
	v_mov_b32_e32 v116, v55
	v_pk_fma_f32 v[162:163], v[74:75], v[116:117], v[72:73] op_sel:[0,0,1] op_sel_hi:[1,0,0]
	v_pk_fma_f32 v[116:117], v[74:75], v[116:117], v[72:73] op_sel:[0,0,1] op_sel_hi:[1,0,0] neg_lo:[1,0,0] neg_hi:[1,0,0]
	s_waitcnt vmcnt(3) lgkmcnt(0)
	v_pk_mul_f32 v[72:73], v[118:119], v[68:69] op_sel_hi:[1,0]
	v_mul_f32_e32 v116, v147, v71
	v_pk_fma_f32 v[164:165], v[118:119], v[68:69], v[72:73] op_sel:[0,1,1] op_sel_hi:[1,1,0]
	v_pk_fma_f32 v[166:167], v[118:119], v[68:69], v[72:73] op_sel:[0,1,1] op_sel_hi:[1,1,0] neg_lo:[1,0,0] neg_hi:[1,0,0]
	ds_read2_b64 v[72:75], v127 offset0:16 offset1:114
	s_waitcnt vmcnt(2)
	v_pk_mul_f32 v[118:119], v[120:121], v[64:65] op_sel_hi:[1,0]
	v_mov_b32_e32 v150, v71
	v_pk_fma_f32 v[168:169], v[120:121], v[64:65], v[118:119] op_sel:[0,1,1] op_sel_hi:[1,1,0]
	v_pk_fma_f32 v[118:119], v[120:121], v[64:65], v[118:119] op_sel:[0,1,1] op_sel_hi:[1,1,0] neg_lo:[1,0,0] neg_hi:[1,0,0]
	s_waitcnt lgkmcnt(0)
	v_mov_b32_e32 v147, v73
	v_mul_f32_e32 v118, v149, v67
	v_mov_b32_e32 v120, v149
	v_mov_b32_e32 v149, v75
	s_waitcnt vmcnt(1)
	v_mov_b32_e32 v151, v59
	v_mov_b32_e32 v154, v67
	s_waitcnt vmcnt(0)
	v_mov_b32_e32 v155, v63
	v_pk_mul_f32 v[172:173], v[146:147], v[150:151]
	ds_read2_b64 v[150:153], v125 offset0:84 offset1:182
	v_pk_mul_f32 v[174:175], v[148:149], v[154:155]
	ds_read2_b64 v[154:157], v128 offset0:76 offset1:174
	v_fma_f32 v147, v146, v70, -v116
	v_fma_f32 v177, v148, v66, -v118
	s_waitcnt lgkmcnt(1)
	v_mul_f32_e32 v118, v151, v49
	v_mov_b32_e32 v148, v151
	s_waitcnt lgkmcnt(0)
	v_mov_b32_e32 v151, v155
	v_mul_f32_e32 v121, v153, v53
	v_mov_b32_e32 v116, v153
	v_mov_b32_e32 v153, v157
	;; [unrolled: 1-line block ×11, first 2 shown]
	v_mul_f32_e32 v167, v73, v58
	v_mov_b32_e32 v160, v161
	v_mul_f32_e32 v161, v72, v59
	v_pk_mul_f32 v[178:179], v[150:151], v[178:179]
	v_pk_mul_f32 v[180:181], v[152:153], v[180:181]
	v_fma_f32 v150, v150, v48, -v118
	v_fma_f32 v118, v152, v52, -v121
	v_pk_add_f32 v[152:153], v[164:165], v[158:159]
	v_pk_add_f32 v[158:159], v[164:165], v[158:159] neg_lo:[0,1] neg_hi:[0,1]
	v_pk_add_f32 v[164:165], v[168:169], v[162:163]
	v_pk_add_f32 v[162:163], v[168:169], v[162:163] neg_lo:[0,1] neg_hi:[0,1]
	v_mov_b32_e32 v171, v72
	v_mov_b32_e32 v168, v70
	;; [unrolled: 1-line block ×3, first 2 shown]
	v_pk_add_f32 v[72:73], v[166:167], v[160:161]
	v_mov_b32_e32 v149, v154
	v_mov_b32_e32 v160, v48
	;; [unrolled: 1-line block ×3, first 2 shown]
	v_pk_fma_f32 v[168:169], v[170:171], v[168:169], v[172:173] neg_lo:[0,0,1] neg_hi:[0,0,1]
	v_pk_fma_f32 v[170:171], v[170:171], v[70:71], v[172:173]
	v_pk_fma_f32 v[160:161], v[148:149], v[160:161], v[178:179] neg_lo:[0,0,1] neg_hi:[0,0,1]
	v_pk_fma_f32 v[148:149], v[148:149], v[48:49], v[178:179]
	v_mov_b32_e32 v171, v169
	v_mov_b32_e32 v149, v161
	v_pk_add_f32 v[166:167], v[170:171], v[148:149]
	v_pk_add_f32 v[170:171], v[170:171], v[148:149] neg_lo:[0,1] neg_hi:[0,1]
	v_mul_f32_e32 v151, v154, v57
	v_mul_f32_e32 v149, v155, v56
	v_mov_b32_e32 v148, v147
	v_pk_add_f32 v[154:155], v[148:149], v[150:151]
	v_mov_b32_e32 v146, v73
	v_mov_b32_e32 v149, v150
	;; [unrolled: 1-line block ×3, first 2 shown]
	v_pk_add_f32 v[150:151], v[146:147], v[148:149] neg_lo:[0,1] neg_hi:[0,1]
	v_mov_b32_e32 v146, v169
	v_mov_b32_e32 v147, v152
	;; [unrolled: 1-line block ×4, first 2 shown]
	v_pk_add_f32 v[146:147], v[148:149], v[146:147]
	v_pk_add_f32 v[148:149], v[154:155], v[72:73]
	v_mov_b32_e32 v160, v146
	v_mov_b32_e32 v73, v149
	;; [unrolled: 1-line block ×3, first 2 shown]
	v_pk_add_f32 v[160:161], v[72:73], v[160:161] neg_lo:[0,1] neg_hi:[0,1]
	v_mov_b32_e32 v73, v152
	v_mov_b32_e32 v153, v152
	;; [unrolled: 1-line block ×3, first 2 shown]
	v_pk_add_f32 v[168:169], v[148:149], v[146:147]
	v_mov_b32_e32 v146, v158
	v_mov_b32_e32 v147, v171
	v_pk_add_f32 v[172:173], v[146:147], v[150:151] neg_lo:[0,1] neg_hi:[0,1]
	v_mov_b32_e32 v146, v150
	v_mov_b32_e32 v147, v159
	v_pk_add_f32 v[146:147], v[146:147], v[170:171] neg_lo:[0,1] neg_hi:[0,1]
	v_mov_b32_e32 v155, v149
	v_pk_mul_f32 v[178:179], v[146:147], s[18:19]
	ds_read2_b64 v[146:149], v79 offset1:98
	v_pk_add_f32 v[182:183], v[170:171], v[150:151]
	v_pk_add_f32 v[152:153], v[152:153], v[154:155] neg_lo:[0,1] neg_hi:[0,1]
	v_mov_b32_e32 v171, v151
	v_mov_b32_e32 v155, v166
	v_pk_add_f32 v[182:183], v[182:183], v[158:159]
	v_pk_mul_f32 v[152:153], v[152:153], s[6:7]
	v_pk_add_f32 v[150:151], v[170:171], v[158:159] neg_lo:[0,1] neg_hi:[0,1]
	v_pk_add_f32 v[72:73], v[154:155], v[72:73] neg_lo:[0,1] neg_hi:[0,1]
	v_pk_mul_f32 v[154:155], v[172:173], s[16:17]
	v_pk_mul_f32 v[158:159], v[160:161], s[2:3]
	s_waitcnt lgkmcnt(0)
	v_pk_add_f32 v[146:147], v[146:147], v[168:169]
	v_pk_fma_f32 v[184:185], v[160:161], s[2:3], v[152:153]
	v_pk_fma_f32 v[186:187], v[172:173], s[16:17], v[178:179]
	v_mov_b32_e32 v160, v158
	v_mov_b32_e32 v161, v153
	v_mov_b32_e32 v166, v154
	v_mov_b32_e32 v167, v179
	v_mov_b32_e32 v153, v159
	v_mov_b32_e32 v179, v155
	v_pk_fma_f32 v[168:169], v[168:169], s[8:9], v[146:147] op_sel_hi:[1,0,1] neg_lo:[1,0,0] neg_hi:[1,0,0]
	v_pk_fma_f32 v[160:161], v[72:73], s[12:13], v[160:161] op_sel_hi:[1,0,1] neg_lo:[1,0,1] neg_hi:[1,0,1]
	;; [unrolled: 1-line block ×5, first 2 shown]
	v_pk_add_f32 v[72:73], v[72:73], v[168:169]
	v_pk_fma_f32 v[150:151], v[182:183], s[14:15], v[150:151] op_sel_hi:[1,0,1]
	v_mov_b32_e32 v121, v74
	v_pk_add_f32 v[152:153], v[72:73], v[150:151] neg_lo:[0,1] neg_hi:[0,1]
	v_pk_add_f32 v[72:73], v[72:73], v[150:151]
	v_mov_b32_e32 v150, v152
	v_mov_b32_e32 v151, v73
	;; [unrolled: 1-line block ×3, first 2 shown]
	ds_write_b64 v79, v[150:151] offset:4704
	ds_write_b64 v79, v[72:73] offset:6272
	v_mul_f32_e32 v73, v75, v62
	v_mul_f32_e32 v75, v74, v63
	v_mov_b32_e32 v150, v66
	v_mov_b32_e32 v151, v62
	;; [unrolled: 1-line block ×6, first 2 shown]
	v_pk_fma_f32 v[150:151], v[120:121], v[150:151], v[174:175] neg_lo:[0,0,1] neg_hi:[0,0,1]
	v_pk_fma_f32 v[120:121], v[120:121], v[66:67], v[174:175]
	v_pk_fma_f32 v[152:153], v[116:117], v[152:153], v[180:181] neg_lo:[0,0,1] neg_hi:[0,0,1]
	v_pk_fma_f32 v[116:117], v[116:117], v[52:53], v[180:181]
	v_mov_b32_e32 v72, v119
	v_mov_b32_e32 v121, v151
	;; [unrolled: 1-line block ×3, first 2 shown]
	v_pk_add_f32 v[72:73], v[72:73], v[74:75]
	v_mul_f32_e32 v119, v156, v61
	v_mul_f32_e32 v75, v157, v60
	v_pk_add_f32 v[154:155], v[120:121], v[116:117]
	v_mov_b32_e32 v74, v177
	v_pk_add_f32 v[116:117], v[120:121], v[116:117] neg_lo:[0,1] neg_hi:[0,1]
	v_pk_add_f32 v[74:75], v[74:75], v[118:119]
	v_mov_b32_e32 v120, v151
	v_mov_b32_e32 v121, v164
	;; [unrolled: 1-line block ×4, first 2 shown]
	v_pk_add_f32 v[184:185], v[184:185], v[168:169]
	v_pk_fma_f32 v[186:187], v[182:183], s[14:15], v[186:187] op_sel_hi:[1,0,1]
	v_pk_add_f32 v[160:161], v[160:161], v[168:169]
	v_pk_fma_f32 v[166:167], v[182:183], s[14:15], v[166:167] op_sel_hi:[1,0,1]
	v_pk_add_f32 v[120:121], v[150:151], v[120:121]
	v_pk_add_f32 v[150:151], v[74:75], v[72:73]
	;; [unrolled: 1-line block ×3, first 2 shown]
	v_pk_add_f32 v[184:185], v[184:185], v[186:187] neg_lo:[0,1] neg_hi:[0,1]
	v_pk_add_f32 v[170:171], v[160:161], v[166:167]
	v_pk_add_f32 v[160:161], v[160:161], v[166:167] neg_lo:[0,1] neg_hi:[0,1]
	v_mov_b32_e32 v176, v73
	v_mov_b32_e32 v119, v118
	;; [unrolled: 1-line block ×5, first 2 shown]
	v_pk_add_f32 v[120:121], v[150:151], v[120:121]
	v_mov_b32_e32 v186, v188
	v_mov_b32_e32 v187, v185
	;; [unrolled: 1-line block ×6, first 2 shown]
	v_pk_add_f32 v[118:119], v[176:177], v[118:119] neg_lo:[0,1] neg_hi:[0,1]
	v_pk_add_f32 v[148:149], v[148:149], v[120:121]
	ds_write_b64 v79, v[186:187] offset:1568
	ds_write_b64 v79, v[166:167] offset:3136
	;; [unrolled: 1-line block ×4, first 2 shown]
	v_mov_b32_e32 v73, v151
	v_mov_b32_e32 v153, v154
	;; [unrolled: 1-line block ×4, first 2 shown]
	ds_write2_b64 v79, v[146:147], v[148:149] offset1:98
	v_pk_fma_f32 v[120:121], v[120:121], s[8:9], v[148:149] op_sel_hi:[1,0,1] neg_lo:[1,0,0] neg_hi:[1,0,0]
	v_mov_b32_e32 v146, v162
	v_mov_b32_e32 v147, v117
	;; [unrolled: 1-line block ×4, first 2 shown]
	v_pk_add_f32 v[152:153], v[72:73], v[152:153] neg_lo:[0,1] neg_hi:[0,1]
	v_mov_b32_e32 v73, v164
	v_pk_add_f32 v[146:147], v[146:147], v[118:119] neg_lo:[0,1] neg_hi:[0,1]
	v_pk_add_f32 v[148:149], v[148:149], v[116:117] neg_lo:[0,1] neg_hi:[0,1]
	;; [unrolled: 1-line block ×3, first 2 shown]
	v_mov_b32_e32 v75, v154
	v_pk_mul_f32 v[148:149], v[148:149], s[18:19]
	v_pk_add_f32 v[150:151], v[116:117], v[118:119]
	v_pk_mul_f32 v[156:157], v[156:157], s[6:7]
	v_mov_b32_e32 v117, v119
	v_pk_add_f32 v[72:73], v[74:75], v[72:73] neg_lo:[0,1] neg_hi:[0,1]
	v_pk_mul_f32 v[74:75], v[146:147], s[16:17]
	v_pk_mul_f32 v[118:119], v[152:153], s[2:3]
	v_pk_fma_f32 v[158:159], v[152:153], s[2:3], v[156:157]
	v_pk_fma_f32 v[160:161], v[146:147], s[16:17], v[148:149]
	v_pk_add_f32 v[116:117], v[116:117], v[162:163] neg_lo:[0,1] neg_hi:[0,1]
	v_mov_b32_e32 v146, v118
	v_mov_b32_e32 v147, v157
	;; [unrolled: 1-line block ×6, first 2 shown]
	v_pk_add_f32 v[150:151], v[150:151], v[162:163]
	v_pk_fma_f32 v[146:147], v[72:73], s[12:13], v[146:147] op_sel_hi:[1,0,1] neg_lo:[1,0,1] neg_hi:[1,0,1]
	v_pk_fma_f32 v[152:153], v[116:117], s[20:21], v[152:153] op_sel_hi:[1,0,1] neg_lo:[1,0,1] neg_hi:[1,0,1]
	;; [unrolled: 1-line block ×4, first 2 shown]
	v_pk_add_f32 v[158:159], v[158:159], v[120:121]
	v_pk_fma_f32 v[160:161], v[150:151], s[14:15], v[160:161] op_sel_hi:[1,0,1]
	v_pk_add_f32 v[146:147], v[146:147], v[120:121]
	v_pk_fma_f32 v[152:153], v[150:151], s[14:15], v[152:153] op_sel_hi:[1,0,1]
	;; [unrolled: 2-line block ×3, first 2 shown]
	v_pk_add_f32 v[164:165], v[158:159], v[160:161]
	v_pk_add_f32 v[158:159], v[158:159], v[160:161] neg_lo:[0,1] neg_hi:[0,1]
	v_pk_add_f32 v[154:155], v[146:147], v[152:153]
	v_pk_add_f32 v[146:147], v[146:147], v[152:153] neg_lo:[0,1] neg_hi:[0,1]
	v_pk_add_f32 v[116:117], v[72:73], v[74:75] neg_lo:[0,1] neg_hi:[0,1]
	v_pk_add_f32 v[72:73], v[72:73], v[74:75]
	v_mov_b32_e32 v160, v164
	v_mov_b32_e32 v161, v159
	;; [unrolled: 1-line block ×9, first 2 shown]
	ds_write_b64 v79, v[160:161] offset:2352
	ds_write_b64 v79, v[152:153] offset:3920
	;; [unrolled: 1-line block ×6, first 2 shown]
	s_waitcnt lgkmcnt(0)
	s_barrier
	global_load_dwordx2 v[114:115], v[114:115], off offset:2784
	v_lshl_add_u64 v[72:73], v[110:111], 0, s[10:11]
	global_load_dwordx2 v[118:119], v[72:73], off offset:784
	s_movk_i32 s9, 0x4000
	v_add_co_u32_e32 v74, vcc, s9, v110
	s_movk_i32 s9, 0x3000
	s_nop 0
	v_addc_co_u32_e32 v75, vcc, 0, v111, vcc
	global_load_dwordx2 v[120:121], v[74:75], off offset:864
	global_load_dwordx2 v[146:147], v[74:75], off offset:1648
	global_load_dwordx2 v[148:149], v[72:73], off offset:1568
	global_load_dwordx2 v[150:151], v[72:73], off offset:2352
	global_load_dwordx2 v[152:153], v[74:75], off offset:2432
	global_load_dwordx2 v[154:155], v[74:75], off offset:3216
	global_load_dwordx2 v[156:157], v[72:73], off offset:3136
	global_load_dwordx2 v[158:159], v[72:73], off offset:3920
	global_load_dwordx2 v[160:161], v[74:75], off offset:80
	v_add_co_u32_e32 v72, vcc, s9, v110
	s_movk_i32 s9, 0x5000
	s_nop 0
	v_addc_co_u32_e32 v73, vcc, 0, v111, vcc
	global_load_dwordx2 v[162:163], v[72:73], off offset:3392
	v_add_co_u32_e32 v72, vcc, s9, v110
	global_load_dwordx2 v[164:165], v[74:75], off offset:4000
	s_nop 0
	v_addc_co_u32_e32 v73, vcc, 0, v111, vcc
	global_load_dwordx2 v[110:111], v[72:73], off offset:688
	ds_read2_b64 v[72:75], v79 offset1:98
	s_mov_b32 s16, 0x3f08b237
	s_mov_b32 s17, 0xbeae86e6
	;; [unrolled: 1-line block ×6, first 2 shown]
	s_waitcnt vmcnt(13) lgkmcnt(0)
	v_mul_f32_e32 v116, v73, v115
	v_mul_f32_e32 v167, v72, v115
	v_fma_f32 v166, v72, v114, -v116
	v_fmac_f32_e32 v167, v73, v114
	ds_read2_b64 v[114:117], v127 offset0:16 offset1:114
	s_waitcnt vmcnt(12)
	v_mul_f32_e32 v72, v75, v119
	v_fma_f32 v168, v74, v118, -v72
	v_mul_f32_e32 v169, v74, v119
	v_fmac_f32_e32 v169, v75, v118
	s_waitcnt vmcnt(11) lgkmcnt(0)
	v_mul_f32_e32 v72, v115, v121
	v_fma_f32 v118, v114, v120, -v72
	ds_read2_b64 v[72:75], v126 offset0:68 offset1:166
	v_mul_f32_e32 v119, v114, v121
	s_waitcnt vmcnt(10)
	v_mul_f32_e32 v114, v117, v147
	v_fmac_f32_e32 v119, v115, v120
	v_fma_f32 v120, v116, v146, -v114
	v_mul_f32_e32 v121, v116, v147
	s_waitcnt vmcnt(9) lgkmcnt(0)
	v_mul_f32_e32 v114, v73, v149
	v_fmac_f32_e32 v121, v117, v146
	v_fma_f32 v146, v72, v148, -v114
	ds_read2_b64 v[114:117], v125 offset0:84 offset1:182
	v_mul_f32_e32 v147, v72, v149
	s_waitcnt vmcnt(8)
	v_mul_f32_e32 v72, v75, v151
	v_fmac_f32_e32 v147, v73, v148
	v_fma_f32 v148, v74, v150, -v72
	v_mul_f32_e32 v149, v74, v151
	s_waitcnt vmcnt(7) lgkmcnt(0)
	v_mul_f32_e32 v72, v115, v153
	v_fmac_f32_e32 v149, v75, v150
	;; [unrolled: 11-line block ×4, first 2 shown]
	v_fma_f32 v158, v116, v160, -v72
	ds_read2_b64 v[72:75], v123 offset0:152 offset1:250
	v_mul_f32_e32 v159, v116, v161
	v_fmac_f32_e32 v159, v117, v160
	s_waitcnt vmcnt(2)
	v_mul_f32_e32 v116, v115, v163
	v_mul_f32_e32 v117, v114, v163
	v_fma_f32 v116, v114, v162, -v116
	v_fmac_f32_e32 v117, v115, v162
	s_waitcnt vmcnt(1) lgkmcnt(0)
	v_mul_f32_e32 v114, v73, v165
	v_mul_f32_e32 v115, v72, v165
	v_fma_f32 v114, v72, v164, -v114
	v_fmac_f32_e32 v115, v73, v164
	s_waitcnt vmcnt(0)
	v_mul_f32_e32 v72, v75, v111
	v_mul_f32_e32 v73, v74, v111
	v_fma_f32 v72, v74, v110, -v72
	v_fmac_f32_e32 v73, v75, v110
	ds_write2_b64 v79, v[166:167], v[168:169] offset1:98
	ds_write2_b64 v127, v[118:119], v[120:121] offset0:16 offset1:114
	ds_write2_b64 v126, v[146:147], v[148:149] offset0:68 offset1:166
	;; [unrolled: 1-line block ×6, first 2 shown]
	s_waitcnt lgkmcnt(0)
	s_barrier
	ds_read2_b64 v[72:75], v79 offset1:98
	ds_read2_b64 v[114:117], v128 offset0:76 offset1:174
	ds_read2_b64 v[146:149], v127 offset0:16 offset1:114
	;; [unrolled: 1-line block ×6, first 2 shown]
	s_waitcnt lgkmcnt(0)
	s_barrier
	v_pk_add_f32 v[118:119], v[72:73], v[116:117] neg_lo:[0,1] neg_hi:[0,1]
	s_nop 0
	v_pk_fma_f32 v[116:117], v[72:73], 2.0, v[118:119] op_sel_hi:[1,0,1] neg_lo:[0,0,1] neg_hi:[0,0,1]
	ds_write_b128 v129, v[116:119]
	v_pk_add_f32 v[118:119], v[74:75], v[146:147] neg_lo:[0,1] neg_hi:[0,1]
	s_nop 0
	v_pk_fma_f32 v[116:117], v[74:75], 2.0, v[118:119] op_sel_hi:[1,0,1] neg_lo:[0,0,1] neg_hi:[0,0,1]
	v_pk_add_f32 v[74:75], v[150:151], v[148:149] neg_lo:[0,1] neg_hi:[0,1]
	ds_write_b128 v87, v[116:119]
	v_pk_fma_f32 v[72:73], v[150:151], 2.0, v[74:75] op_sel_hi:[1,0,1] neg_lo:[0,0,1] neg_hi:[0,0,1]
	ds_write_b128 v130, v[72:75]
	v_pk_add_f32 v[74:75], v[152:153], v[154:155] neg_lo:[0,1] neg_hi:[0,1]
	s_nop 0
	v_pk_fma_f32 v[72:73], v[152:153], 2.0, v[74:75] op_sel_hi:[1,0,1] neg_lo:[0,0,1] neg_hi:[0,0,1]
	ds_write_b128 v131, v[72:75]
	v_pk_add_f32 v[74:75], v[158:159], v[156:157] neg_lo:[0,1] neg_hi:[0,1]
	s_nop 0
	;; [unrolled: 4-line block ×4, first 2 shown]
	v_pk_fma_f32 v[72:73], v[114:115], 2.0, v[74:75] op_sel_hi:[1,0,1] neg_lo:[0,0,1] neg_hi:[0,0,1]
	ds_write_b128 v134, v[72:75]
	s_waitcnt lgkmcnt(0)
	s_barrier
	ds_read2_b64 v[72:75], v123 offset0:152 offset1:250
	ds_read2_b64 v[114:117], v125 offset0:84 offset1:182
	s_waitcnt lgkmcnt(1)
	v_pk_mul_f32 v[110:111], v[112:113], v[74:75] op_sel:[1,0]
	s_nop 0
	v_pk_fma_f32 v[120:121], v[112:113], v[74:75], v[110:111] op_sel:[0,0,1] op_sel_hi:[1,1,0]
	v_pk_fma_f32 v[130:131], v[112:113], v[74:75], v[110:111] op_sel:[0,0,1] op_sel_hi:[0,1,0] neg_lo:[0,0,1] neg_hi:[0,0,1]
	v_pk_mul_f32 v[74:75], v[112:113], v[72:73] op_sel:[1,0]
	s_waitcnt lgkmcnt(0)
	v_pk_mul_f32 v[110:111], v[112:113], v[116:117] op_sel:[1,0]
	v_pk_fma_f32 v[132:133], v[112:113], v[72:73], v[74:75] op_sel:[0,0,1] op_sel_hi:[1,1,0]
	v_pk_fma_f32 v[146:147], v[112:113], v[72:73], v[74:75] op_sel:[0,0,1] op_sel_hi:[0,1,0] neg_lo:[0,0,1] neg_hi:[0,0,1]
	ds_read2_b64 v[72:75], v127 offset0:16 offset1:114
	v_pk_fma_f32 v[148:149], v[112:113], v[116:117], v[110:111] op_sel:[0,0,1] op_sel_hi:[1,1,0]
	v_pk_fma_f32 v[150:151], v[112:113], v[116:117], v[110:111] op_sel:[0,0,1] op_sel_hi:[0,1,0] neg_lo:[0,0,1] neg_hi:[0,0,1]
	v_pk_mul_f32 v[110:111], v[112:113], v[114:115] op_sel:[1,0]
	v_mov_b32_e32 v149, v151
	v_pk_fma_f32 v[152:153], v[112:113], v[114:115], v[110:111] op_sel:[0,0,1] op_sel_hi:[1,1,0]
	v_pk_fma_f32 v[154:155], v[112:113], v[114:115], v[110:111] op_sel:[0,0,1] op_sel_hi:[0,1,0] neg_lo:[0,0,1] neg_hi:[0,0,1]
	ds_read2_b64 v[114:117], v128 offset0:76 offset1:174
	s_waitcnt lgkmcnt(1)
	v_pk_mul_f32 v[110:111], v[112:113], v[74:75] op_sel:[1,0]
	v_mov_b32_e32 v153, v155
	v_pk_fma_f32 v[156:157], v[112:113], v[74:75], v[110:111] op_sel:[0,0,1] op_sel_hi:[1,1,0]
	v_pk_fma_f32 v[158:159], v[112:113], v[74:75], v[110:111] op_sel:[0,0,1] op_sel_hi:[0,1,0] neg_lo:[0,0,1] neg_hi:[0,0,1]
	v_pk_mul_f32 v[74:75], v[112:113], v[72:73] op_sel:[1,0]
	s_waitcnt lgkmcnt(0)
	v_pk_mul_f32 v[110:111], v[112:113], v[116:117] op_sel:[1,0]
	v_pk_fma_f32 v[160:161], v[112:113], v[72:73], v[74:75] op_sel:[0,0,1] op_sel_hi:[1,1,0]
	v_pk_fma_f32 v[162:163], v[112:113], v[72:73], v[74:75] op_sel:[0,0,1] op_sel_hi:[0,1,0] neg_lo:[0,0,1] neg_hi:[0,0,1]
	ds_read2_b64 v[72:75], v79 offset1:98
	v_pk_fma_f32 v[118:119], v[112:113], v[116:117], v[110:111] op_sel:[0,0,1] op_sel_hi:[1,1,0]
	v_pk_fma_f32 v[110:111], v[112:113], v[116:117], v[110:111] op_sel:[0,0,1] op_sel_hi:[0,1,0] neg_lo:[0,0,1] neg_hi:[0,0,1]
	v_mov_b32_e32 v119, v111
	v_mov_b32_e32 v161, v163
	s_waitcnt lgkmcnt(0)
	v_pk_add_f32 v[164:165], v[72:73], v[118:119] neg_lo:[0,1] neg_hi:[0,1]
	ds_read2_b64 v[110:113], v124 offset0:136 offset1:234
	ds_read2_b64 v[116:119], v126 offset0:68 offset1:166
	v_pk_fma_f32 v[72:73], v[72:73], 2.0, v[164:165] op_sel_hi:[1,0,1] neg_lo:[0,0,1] neg_hi:[0,0,1]
	s_waitcnt lgkmcnt(0)
	s_barrier
	ds_write2_b64 v135, v[72:73], v[164:165] offset1:2
	v_pk_add_f32 v[72:73], v[74:75], v[160:161] neg_lo:[0,1] neg_hi:[0,1]
	v_mov_b32_e32 v157, v159
	v_pk_fma_f32 v[74:75], v[74:75], 2.0, v[72:73] op_sel_hi:[1,0,1] neg_lo:[0,0,1] neg_hi:[0,0,1]
	ds_write2_b64 v136, v[74:75], v[72:73] offset1:2
	v_pk_add_f32 v[72:73], v[116:117], v[156:157] neg_lo:[0,1] neg_hi:[0,1]
	v_mov_b32_e32 v133, v147
	v_pk_fma_f32 v[74:75], v[116:117], 2.0, v[72:73] op_sel_hi:[1,0,1] neg_lo:[0,0,1] neg_hi:[0,0,1]
	;; [unrolled: 4-line block ×3, first 2 shown]
	ds_write2_b64 v138, v[74:75], v[72:73] offset1:2
	v_pk_add_f32 v[72:73], v[110:111], v[148:149] neg_lo:[0,1] neg_hi:[0,1]
	s_nop 0
	v_pk_fma_f32 v[74:75], v[110:111], 2.0, v[72:73] op_sel_hi:[1,0,1] neg_lo:[0,0,1] neg_hi:[0,0,1]
	ds_write2_b64 v139, v[74:75], v[72:73] offset1:2
	v_pk_add_f32 v[72:73], v[112:113], v[132:133] neg_lo:[0,1] neg_hi:[0,1]
	s_nop 0
	v_pk_fma_f32 v[74:75], v[112:113], 2.0, v[72:73] op_sel_hi:[1,0,1] neg_lo:[0,0,1] neg_hi:[0,0,1]
	ds_write2_b64 v140, v[74:75], v[72:73] offset1:2
	v_pk_add_f32 v[72:73], v[114:115], v[120:121] neg_lo:[0,1] neg_hi:[0,1]
	s_nop 0
	v_pk_fma_f32 v[74:75], v[114:115], 2.0, v[72:73] op_sel_hi:[1,0,1] neg_lo:[0,0,1] neg_hi:[0,0,1]
	ds_write2_b64 v141, v[74:75], v[72:73] offset1:2
	s_waitcnt lgkmcnt(0)
	s_barrier
	ds_read2_b64 v[72:75], v126 offset0:68 offset1:166
	ds_read2_b64 v[110:113], v124 offset0:136 offset1:234
	s_waitcnt lgkmcnt(1)
	v_mov_b32_e32 v114, v73
	v_pk_mul_f32 v[116:117], v[16:17], v[72:73] op_sel_hi:[1,0]
	s_nop 0
	v_pk_fma_f32 v[114:115], v[16:17], v[114:115], v[116:117] op_sel:[0,0,1] op_sel_hi:[1,1,0] neg_lo:[0,0,1] neg_hi:[0,0,1]
	v_pk_fma_f32 v[116:117], v[16:17], v[72:73], v[116:117] op_sel:[0,1,1] op_sel_hi:[1,1,0]
	s_waitcnt lgkmcnt(0)
	v_mov_b32_e32 v16, v111
	v_pk_mul_f32 v[72:73], v[18:19], v[110:111] op_sel_hi:[1,0]
	v_mov_b32_e32 v115, v117
	v_pk_fma_f32 v[118:119], v[18:19], v[16:17], v[72:73] op_sel:[0,0,1] op_sel_hi:[1,1,0] neg_lo:[0,0,1] neg_hi:[0,0,1]
	v_pk_fma_f32 v[120:121], v[18:19], v[110:111], v[72:73] op_sel:[0,1,1] op_sel_hi:[1,1,0]
	v_pk_mul_f32 v[72:73], v[12:13], v[74:75] op_sel_hi:[1,0]
	v_mov_b32_e32 v18, v75
	v_pk_fma_f32 v[16:17], v[12:13], v[74:75], v[72:73] op_sel:[0,1,1] op_sel_hi:[1,1,0]
	v_pk_fma_f32 v[12:13], v[12:13], v[18:19], v[72:73] op_sel:[0,0,1] op_sel_hi:[1,1,0] neg_lo:[0,0,1] neg_hi:[0,0,1]
	v_mov_b32_e32 v16, v113
	ds_read2_b64 v[72:75], v125 offset0:84 offset1:182
	v_pk_mul_f32 v[110:111], v[14:15], v[112:113] op_sel_hi:[1,0]
	v_mov_b32_e32 v119, v121
	v_pk_fma_f32 v[18:19], v[14:15], v[112:113], v[110:111] op_sel:[0,1,1] op_sel_hi:[1,1,0]
	v_pk_fma_f32 v[14:15], v[14:15], v[16:17], v[110:111] op_sel:[0,0,1] op_sel_hi:[1,1,0] neg_lo:[0,0,1] neg_hi:[0,0,1]
	ds_read2_b64 v[110:113], v123 offset0:152 offset1:250
	s_waitcnt lgkmcnt(1)
	v_mov_b32_e32 v16, v73
	v_pk_mul_f32 v[130:131], v[4:5], v[72:73] op_sel_hi:[1,0]
	v_mov_b32_e32 v13, v17
	v_pk_fma_f32 v[132:133], v[4:5], v[16:17], v[130:131] op_sel:[0,0,1] op_sel_hi:[1,1,0] neg_lo:[0,0,1] neg_hi:[0,0,1]
	v_pk_fma_f32 v[130:131], v[4:5], v[72:73], v[130:131] op_sel:[0,1,1] op_sel_hi:[1,1,0]
	s_waitcnt lgkmcnt(0)
	v_mov_b32_e32 v4, v111
	v_pk_mul_f32 v[72:73], v[6:7], v[110:111] op_sel_hi:[1,0]
	v_mov_b32_e32 v16, v113
	v_pk_fma_f32 v[134:135], v[6:7], v[4:5], v[72:73] op_sel:[0,0,1] op_sel_hi:[1,1,0] neg_lo:[0,0,1] neg_hi:[0,0,1]
	v_pk_fma_f32 v[110:111], v[6:7], v[110:111], v[72:73] op_sel:[0,1,1] op_sel_hi:[1,1,0]
	v_mov_b32_e32 v4, v75
	v_pk_mul_f32 v[6:7], v[0:1], v[74:75] op_sel_hi:[1,0]
	v_pk_mul_f32 v[138:139], v[2:3], v[112:113] op_sel_hi:[1,0]
	v_pk_fma_f32 v[136:137], v[0:1], v[74:75], v[6:7] op_sel:[0,1,1] op_sel_hi:[1,1,0]
	v_pk_fma_f32 v[0:1], v[0:1], v[4:5], v[6:7] op_sel:[0,0,1] op_sel_hi:[1,1,0] neg_lo:[0,0,1] neg_hi:[0,0,1]
	ds_read2_b64 v[4:7], v128 offset0:76 offset1:174
	ds_read2_b64 v[72:75], v127 offset0:16 offset1:114
	v_pk_fma_f32 v[112:113], v[2:3], v[112:113], v[138:139] op_sel:[0,1,1] op_sel_hi:[1,1,0]
	v_pk_fma_f32 v[138:139], v[2:3], v[16:17], v[138:139] op_sel:[0,0,1] op_sel_hi:[1,1,0] neg_lo:[0,0,1] neg_hi:[0,0,1]
	v_mov_b32_e32 v133, v131
	s_waitcnt lgkmcnt(1)
	v_pk_mul_f32 v[2:3], v[8:9], v[4:5] op_sel:[0,1] op_sel_hi:[1,0]
	s_waitcnt lgkmcnt(0)
	v_pk_mul_f32 v[140:141], v[10:11], v[72:73] op_sel:[0,1] op_sel_hi:[1,0]
	v_mov_b32_e32 v2, v3
	v_mov_b32_e32 v16, v141
	v_pk_fma_f32 v[2:3], v[8:9], v[4:5], v[2:3] op_sel:[0,1,0] op_sel_hi:[1,0,1] neg_lo:[0,0,1] neg_hi:[0,0,1]
	v_pk_fma_f32 v[140:141], v[10:11], v[72:73], v[16:17] op_sel:[0,1,0] op_sel_hi:[1,0,1] neg_lo:[0,0,1] neg_hi:[0,0,1]
	v_pk_mul_f32 v[146:147], v[8:9], v[4:5]
	v_mov_b32_e32 v8, v9
	v_pk_mul_f32 v[148:149], v[10:11], v[72:73]
	v_mov_b32_e32 v10, v11
	v_pk_mul_f32 v[150:151], v[20:21], v[6:7] op_sel:[0,1] op_sel_hi:[1,0]
	v_pk_mul_f32 v[4:5], v[8:9], v[4:5] op_sel:[0,1] op_sel_hi:[1,0]
	v_mov_b32_e32 v8, v21
	v_mov_b32_e32 v16, v151
	v_pk_mul_f32 v[10:11], v[10:11], v[72:73] op_sel:[0,1] op_sel_hi:[1,0]
	v_pk_mul_f32 v[8:9], v[8:9], v[6:7] op_sel:[0,1] op_sel_hi:[1,0]
	v_pk_fma_f32 v[150:151], v[20:21], v[6:7], v[16:17] op_sel:[0,1,0] op_sel_hi:[1,0,1] neg_lo:[0,0,1] neg_hi:[0,0,1]
	v_pk_mul_f32 v[6:7], v[20:21], v[6:7]
	v_pk_mul_f32 v[20:21], v[22:23], v[74:75] op_sel:[0,1] op_sel_hi:[1,0]
	v_mov_b32_e32 v149, v114
	v_mov_b32_e32 v11, v134
	;; [unrolled: 1-line block ×5, first 2 shown]
	v_pk_add_f32 v[10:11], v[148:149], v[10:11]
	v_pk_add_f32 v[116:117], v[146:147], v[4:5]
	v_pk_fma_f32 v[20:21], v[22:23], v[74:75], v[16:17] op_sel:[0,1,0] op_sel_hi:[1,0,1] neg_lo:[0,0,1] neg_hi:[0,0,1]
	v_mov_b32_e32 v16, v23
	v_mov_b32_e32 v135, v111
	v_mov_b32_e32 v141, v10
	v_mov_b32_e32 v3, v116
	v_pk_mul_f32 v[152:153], v[22:23], v[74:75]
	v_pk_mul_f32 v[22:23], v[16:17], v[74:75] op_sel:[0,1] op_sel_hi:[1,0]
	v_pk_add_f32 v[72:73], v[114:115], v[134:135]
	v_pk_add_f32 v[74:75], v[114:115], v[134:135] neg_lo:[0,1] neg_hi:[0,1]
	v_pk_add_f32 v[114:115], v[118:119], v[132:133] neg_lo:[0,1] neg_hi:[0,1]
	;; [unrolled: 1-line block ×3, first 2 shown]
	v_pk_add_f32 v[110:111], v[118:119], v[132:133]
	v_mov_b32_e32 v118, v4
	v_mov_b32_e32 v119, v75
	;; [unrolled: 1-line block ×4, first 2 shown]
	v_pk_add_f32 v[118:119], v[118:119], v[120:121] neg_lo:[0,1] neg_hi:[0,1]
	v_mov_b32_e32 v120, v74
	v_mov_b32_e32 v130, v4
	;; [unrolled: 1-line block ×3, first 2 shown]
	v_pk_add_f32 v[120:121], v[120:121], v[130:131] neg_lo:[0,1] neg_hi:[0,1]
	v_mov_b32_e32 v3, v2
	v_mov_b32_e32 v2, v111
	;; [unrolled: 1-line block ×4, first 2 shown]
	v_pk_add_f32 v[130:131], v[2:3], v[130:131]
	v_pk_add_f32 v[2:3], v[4:5], v[114:115]
	v_mov_b32_e32 v4, v111
	v_pk_add_f32 v[132:133], v[2:3], v[74:75]
	v_pk_add_f32 v[2:3], v[116:117], v[10:11]
	v_mov_b32_e32 v5, v131
	v_mov_b32_e32 v10, v2
	v_pk_add_f32 v[134:135], v[10:11], v[4:5] neg_lo:[0,1] neg_hi:[0,1]
	v_mov_b32_e32 v116, v2
	v_pk_add_f32 v[140:141], v[130:131], v[2:3]
	ds_read2_b64 v[2:5], v79 offset1:98
	v_mov_b32_e32 v130, v73
	v_pk_mul_f32 v[118:119], v[118:119], s[16:17]
	v_pk_add_f32 v[130:131], v[130:131], v[116:117] neg_lo:[0,1] neg_hi:[0,1]
	v_pk_mul_f32 v[134:135], v[134:135], s[6:7]
	s_waitcnt lgkmcnt(0)
	v_pk_add_f32 v[2:3], v[2:3], v[140:141]
	v_pk_fma_f32 v[146:147], v[130:131], s[2:3], v[134:135]
	v_pk_fma_f32 v[140:141], v[140:141], s[8:9], v[2:3] op_sel_hi:[1,0,1] neg_lo:[1,0,0] neg_hi:[1,0,0]
	v_pk_fma_f32 v[148:149], v[120:121], s[14:15], v[118:119]
	v_pk_add_f32 v[146:147], v[146:147], v[140:141]
	v_pk_fma_f32 v[148:149], v[132:133], s[10:11], v[148:149] op_sel_hi:[1,0,1]
	s_nop 0
	v_pk_add_f32 v[154:155], v[146:147], v[148:149]
	v_pk_add_f32 v[146:147], v[146:147], v[148:149] neg_lo:[0,1] neg_hi:[0,1]
	v_mov_b32_e32 v148, v154
	v_mov_b32_e32 v149, v147
	s_barrier
	ds_write2_b64 v142, v[2:3], v[148:149] offset1:4
	v_pk_add_f32 v[2:3], v[114:115], v[74:75] neg_lo:[0,1] neg_hi:[0,1]
	v_mov_b32_e32 v116, v111
	v_mov_b32_e32 v10, v73
	v_pk_mul_f32 v[72:73], v[120:121], s[14:15]
	v_pk_mul_f32 v[74:75], v[130:131], s[2:3]
	v_pk_add_f32 v[10:11], v[116:117], v[10:11] neg_lo:[0,1] neg_hi:[0,1]
	v_mov_b32_e32 v110, v74
	v_mov_b32_e32 v111, v135
	;; [unrolled: 1-line block ×6, first 2 shown]
	v_pk_fma_f32 v[110:111], v[10:11], s[12:13], v[110:111] op_sel_hi:[1,0,1] neg_lo:[1,0,1] neg_hi:[1,0,1]
	v_pk_fma_f32 v[114:115], v[2:3], s[18:19], v[114:115] op_sel_hi:[1,0,1] neg_lo:[1,0,1] neg_hi:[1,0,1]
	;; [unrolled: 1-line block ×4, first 2 shown]
	v_pk_add_f32 v[110:111], v[110:111], v[140:141]
	v_pk_fma_f32 v[114:115], v[132:133], s[10:11], v[114:115] op_sel_hi:[1,0,1]
	v_pk_add_f32 v[10:11], v[10:11], v[140:141]
	v_pk_fma_f32 v[2:3], v[132:133], s[10:11], v[2:3] op_sel_hi:[1,0,1]
	v_pk_add_f32 v[116:117], v[110:111], v[114:115]
	v_pk_add_f32 v[110:111], v[110:111], v[114:115] neg_lo:[0,1] neg_hi:[0,1]
	v_pk_add_f32 v[72:73], v[10:11], v[2:3] neg_lo:[0,1] neg_hi:[0,1]
	v_pk_add_f32 v[2:3], v[10:11], v[2:3]
	v_mov_b32_e32 v10, v116
	v_mov_b32_e32 v11, v111
	;; [unrolled: 1-line block ×13, first 2 shown]
	ds_write2_b64 v142, v[10:11], v[74:75] offset0:8 offset1:12
	ds_write2_b64 v142, v[2:3], v[110:111] offset0:16 offset1:20
	v_pk_add_f32 v[2:3], v[12:13], v[138:139]
	v_pk_add_f32 v[10:11], v[12:13], v[138:139] neg_lo:[0,1] neg_hi:[0,1]
	v_pk_add_f32 v[12:13], v[152:153], v[22:23]
	v_pk_add_f32 v[16:17], v[14:15], v[0:1]
	v_pk_add_f32 v[14:15], v[14:15], v[0:1] neg_lo:[0,1] neg_hi:[0,1]
	v_pk_add_f32 v[0:1], v[6:7], v[8:9]
	v_mov_b32_e32 v21, v12
	v_mov_b32_e32 v151, v0
	v_pk_add_f32 v[6:7], v[20:21], v[150:151] neg_lo:[0,1] neg_hi:[0,1]
	v_mov_b32_e32 v9, v11
	v_mov_b32_e32 v8, v6
	v_mov_b32_e32 v18, v14
	v_mov_b32_e32 v19, v7
	v_pk_add_f32 v[8:9], v[8:9], v[18:19] neg_lo:[0,1] neg_hi:[0,1]
	v_mov_b32_e32 v18, v10
	v_mov_b32_e32 v22, v6
	;; [unrolled: 1-line block ×3, first 2 shown]
	v_pk_add_f32 v[18:19], v[18:19], v[22:23] neg_lo:[0,1] neg_hi:[0,1]
	v_mov_b32_e32 v23, v150
	v_mov_b32_e32 v22, v17
	;; [unrolled: 1-line block ×4, first 2 shown]
	v_pk_add_f32 v[20:21], v[22:23], v[20:21]
	v_pk_add_f32 v[22:23], v[0:1], v[12:13]
	v_mov_b32_e32 v72, v17
	v_mov_b32_e32 v12, v22
	;; [unrolled: 1-line block ×4, first 2 shown]
	v_pk_add_f32 v[22:23], v[20:21], v[22:23]
	v_pk_add_f32 v[72:73], v[12:13], v[72:73] neg_lo:[0,1] neg_hi:[0,1]
	v_mov_b32_e32 v20, v3
	v_pk_add_f32 v[4:5], v[4:5], v[22:23]
	v_pk_mul_f32 v[8:9], v[8:9], s[16:17]
	v_pk_add_f32 v[6:7], v[6:7], v[14:15]
	v_pk_add_f32 v[20:21], v[20:21], v[0:1] neg_lo:[0,1] neg_hi:[0,1]
	v_pk_mul_f32 v[72:73], v[72:73], s[6:7]
	v_pk_add_f32 v[6:7], v[6:7], v[10:11]
	v_pk_fma_f32 v[22:23], v[22:23], s[8:9], v[4:5] op_sel_hi:[1,0,1] neg_lo:[1,0,0] neg_hi:[1,0,0]
	v_pk_fma_f32 v[74:75], v[20:21], s[2:3], v[72:73]
	v_pk_fma_f32 v[110:111], v[18:19], s[14:15], v[8:9]
	v_pk_add_f32 v[74:75], v[74:75], v[22:23]
	v_pk_fma_f32 v[110:111], v[6:7], s[10:11], v[110:111] op_sel_hi:[1,0,1]
	v_mov_b32_e32 v147, v155
	v_pk_add_f32 v[112:113], v[74:75], v[110:111]
	v_pk_add_f32 v[74:75], v[74:75], v[110:111] neg_lo:[0,1] neg_hi:[0,1]
	v_mov_b32_e32 v110, v112
	v_mov_b32_e32 v111, v75
	ds_write_b64 v142, v[146:147] offset:192
	ds_write2_b64 v143, v[4:5], v[110:111] offset1:4
	v_pk_add_f32 v[4:5], v[14:15], v[10:11] neg_lo:[0,1] neg_hi:[0,1]
	v_mov_b32_e32 v0, v17
	v_mov_b32_e32 v12, v3
	v_pk_mul_f32 v[2:3], v[18:19], s[14:15]
	v_pk_mul_f32 v[10:11], v[20:21], s[2:3]
	v_pk_add_f32 v[0:1], v[0:1], v[12:13] neg_lo:[0,1] neg_hi:[0,1]
	v_mov_b32_e32 v12, v10
	v_mov_b32_e32 v13, v73
	;; [unrolled: 1-line block ×6, first 2 shown]
	v_pk_fma_f32 v[12:13], v[0:1], s[12:13], v[12:13] op_sel_hi:[1,0,1] neg_lo:[1,0,1] neg_hi:[1,0,1]
	v_pk_fma_f32 v[14:15], v[4:5], s[18:19], v[14:15] op_sel_hi:[1,0,1] neg_lo:[1,0,1] neg_hi:[1,0,1]
	;; [unrolled: 1-line block ×4, first 2 shown]
	v_pk_add_f32 v[12:13], v[12:13], v[22:23]
	v_pk_fma_f32 v[14:15], v[6:7], s[10:11], v[14:15] op_sel_hi:[1,0,1]
	v_pk_add_f32 v[0:1], v[0:1], v[22:23]
	v_pk_fma_f32 v[2:3], v[6:7], s[10:11], v[2:3] op_sel_hi:[1,0,1]
	v_pk_add_f32 v[16:17], v[12:13], v[14:15]
	v_pk_add_f32 v[12:13], v[12:13], v[14:15] neg_lo:[0,1] neg_hi:[0,1]
	v_pk_add_f32 v[4:5], v[0:1], v[2:3] neg_lo:[0,1] neg_hi:[0,1]
	v_pk_add_f32 v[0:1], v[0:1], v[2:3]
	v_mov_b32_e32 v2, v16
	v_mov_b32_e32 v3, v13
	;; [unrolled: 1-line block ×7, first 2 shown]
	ds_write2_b64 v143, v[2:3], v[6:7] offset0:8 offset1:12
	ds_write2_b64 v143, v[0:1], v[12:13] offset0:16 offset1:20
	ds_write_b64 v143, v[74:75] offset:192
	s_waitcnt lgkmcnt(0)
	s_barrier
	ds_read2_b64 v[0:3], v126 offset0:68 offset1:166
	ds_read2_b64 v[4:7], v124 offset0:136 offset1:234
	;; [unrolled: 1-line block ×3, first 2 shown]
	s_waitcnt lgkmcnt(2)
	v_mov_b32_e32 v8, v1
	v_pk_mul_f32 v[10:11], v[40:41], v[0:1] op_sel_hi:[1,0]
	s_nop 0
	v_pk_fma_f32 v[16:17], v[40:41], v[8:9], v[10:11] op_sel:[0,0,1] op_sel_hi:[1,1,0] neg_lo:[0,0,1] neg_hi:[0,0,1]
	v_pk_fma_f32 v[18:19], v[40:41], v[0:1], v[10:11] op_sel:[0,1,1] op_sel_hi:[1,1,0]
	s_waitcnt lgkmcnt(1)
	v_mov_b32_e32 v0, v5
	v_pk_mul_f32 v[8:9], v[42:43], v[4:5] op_sel_hi:[1,0]
	v_mov_b32_e32 v17, v19
	v_pk_fma_f32 v[20:21], v[42:43], v[0:1], v[8:9] op_sel:[0,0,1] op_sel_hi:[1,1,0] neg_lo:[0,0,1] neg_hi:[0,0,1]
	v_pk_fma_f32 v[22:23], v[42:43], v[4:5], v[8:9] op_sel:[0,1,1] op_sel_hi:[1,1,0]
	ds_read2_b64 v[8:11], v125 offset0:84 offset1:182
	v_pk_mul_f32 v[4:5], v[36:37], v[2:3] op_sel_hi:[1,0]
	v_mov_b32_e32 v0, v3
	v_pk_fma_f32 v[2:3], v[36:37], v[2:3], v[4:5] op_sel:[0,1,1] op_sel_hi:[1,1,0]
	v_pk_fma_f32 v[0:1], v[36:37], v[0:1], v[4:5] op_sel:[0,0,1] op_sel_hi:[1,1,0] neg_lo:[0,0,1] neg_hi:[0,0,1]
	v_mov_b32_e32 v2, v7
	v_pk_mul_f32 v[4:5], v[38:39], v[6:7] op_sel_hi:[1,0]
	s_waitcnt lgkmcnt(0)
	v_pk_mul_f32 v[36:37], v[28:29], v[8:9] op_sel_hi:[1,0]
	v_pk_fma_f32 v[6:7], v[38:39], v[6:7], v[4:5] op_sel:[0,1,1] op_sel_hi:[1,1,0]
	v_pk_fma_f32 v[4:5], v[38:39], v[2:3], v[4:5] op_sel:[0,0,1] op_sel_hi:[1,1,0] neg_lo:[0,0,1] neg_hi:[0,0,1]
	v_mov_b32_e32 v2, v9
	v_pk_fma_f32 v[38:39], v[28:29], v[2:3], v[36:37] op_sel:[0,0,1] op_sel_hi:[1,1,0] neg_lo:[0,0,1] neg_hi:[0,0,1]
	v_pk_fma_f32 v[28:29], v[28:29], v[8:9], v[36:37] op_sel:[0,1,1] op_sel_hi:[1,1,0]
	v_mov_b32_e32 v2, v13
	v_pk_mul_f32 v[8:9], v[30:31], v[12:13] op_sel_hi:[1,0]
	v_pk_mul_f32 v[42:43], v[26:27], v[14:15] op_sel_hi:[1,0]
	v_pk_fma_f32 v[36:37], v[30:31], v[2:3], v[8:9] op_sel:[0,0,1] op_sel_hi:[1,1,0] neg_lo:[0,0,1] neg_hi:[0,0,1]
	v_pk_fma_f32 v[30:31], v[30:31], v[12:13], v[8:9] op_sel:[0,1,1] op_sel_hi:[1,1,0]
	v_mov_b32_e32 v2, v11
	v_pk_mul_f32 v[8:9], v[24:25], v[10:11] op_sel_hi:[1,0]
	v_pk_fma_f32 v[72:73], v[26:27], v[14:15], v[42:43] op_sel:[0,1,1] op_sel_hi:[1,1,0]
	v_pk_fma_f32 v[40:41], v[24:25], v[10:11], v[8:9] op_sel:[0,1,1] op_sel_hi:[1,1,0]
	v_pk_fma_f32 v[24:25], v[24:25], v[2:3], v[8:9] op_sel:[0,0,1] op_sel_hi:[1,1,0] neg_lo:[0,0,1] neg_hi:[0,0,1]
	ds_read2_b64 v[8:11], v128 offset0:76 offset1:174
	v_mov_b32_e32 v2, v15
	ds_read2_b64 v[12:15], v127 offset0:16 offset1:114
	v_pk_fma_f32 v[26:27], v[26:27], v[2:3], v[42:43] op_sel:[0,0,1] op_sel_hi:[1,1,0] neg_lo:[0,0,1] neg_hi:[0,0,1]
	v_mov_b32_e32 v6, v35
	s_waitcnt lgkmcnt(1)
	v_pk_mul_f32 v[42:43], v[32:33], v[8:9] op_sel:[0,1] op_sel_hi:[1,0]
	v_pk_mul_f32 v[110:111], v[32:33], v[8:9]
	v_mov_b32_e32 v2, v43
	s_waitcnt lgkmcnt(0)
	v_pk_mul_f32 v[74:75], v[34:35], v[12:13] op_sel:[0,1] op_sel_hi:[1,0]
	v_pk_fma_f32 v[42:43], v[32:33], v[8:9], v[2:3] op_sel:[0,1,0] op_sel_hi:[1,0,1] neg_lo:[0,0,1] neg_hi:[0,0,1]
	v_mov_b32_e32 v2, v75
	v_pk_fma_f32 v[74:75], v[34:35], v[12:13], v[2:3] op_sel:[0,1,0] op_sel_hi:[1,0,1] neg_lo:[0,0,1] neg_hi:[0,0,1]
	v_mov_b32_e32 v2, v33
	v_pk_mul_f32 v[8:9], v[2:3], v[8:9] op_sel:[0,1] op_sel_hi:[1,0]
	v_mov_b32_e32 v2, v45
	v_pk_mul_f32 v[112:113], v[44:45], v[10:11] op_sel:[0,1] op_sel_hi:[1,0]
	v_pk_mul_f32 v[32:33], v[34:35], v[12:13]
	v_pk_mul_f32 v[34:35], v[2:3], v[10:11] op_sel:[0,1] op_sel_hi:[1,0]
	v_mov_b32_e32 v2, v113
	v_pk_fma_f32 v[112:113], v[44:45], v[10:11], v[2:3] op_sel:[0,1,0] op_sel_hi:[1,0,1] neg_lo:[0,0,1] neg_hi:[0,0,1]
	v_pk_mul_f32 v[44:45], v[44:45], v[10:11]
	v_pk_mul_f32 v[10:11], v[46:47], v[14:15] op_sel:[0,1] op_sel_hi:[1,0]
	v_mov_b32_e32 v33, v16
	v_mov_b32_e32 v2, v11
	v_pk_mul_f32 v[10:11], v[6:7], v[12:13] op_sel:[0,1] op_sel_hi:[1,0]
	v_mov_b32_e32 v111, v20
	v_mov_b32_e32 v11, v36
	;; [unrolled: 1-line block ×4, first 2 shown]
	v_pk_add_f32 v[18:19], v[32:33], v[10:11]
	v_pk_add_f32 v[28:29], v[110:111], v[8:9]
	v_pk_fma_f32 v[114:115], v[46:47], v[14:15], v[2:3] op_sel:[0,1,0] op_sel_hi:[1,0,1] neg_lo:[0,0,1] neg_hi:[0,0,1]
	v_mov_b32_e32 v2, v47
	v_mov_b32_e32 v21, v23
	v_mov_b32_e32 v37, v31
	v_mov_b32_e32 v75, v18
	v_mov_b32_e32 v43, v28
	v_pk_mul_f32 v[116:117], v[46:47], v[14:15]
	v_pk_mul_f32 v[12:13], v[2:3], v[14:15] op_sel:[0,1] op_sel_hi:[1,0]
	v_pk_add_f32 v[14:15], v[16:17], v[36:37]
	v_pk_add_f32 v[16:17], v[16:17], v[36:37] neg_lo:[0,1] neg_hi:[0,1]
	v_pk_add_f32 v[22:23], v[20:21], v[38:39]
	v_pk_add_f32 v[20:21], v[20:21], v[38:39] neg_lo:[0,1] neg_hi:[0,1]
	v_pk_add_f32 v[8:9], v[74:75], v[42:43] neg_lo:[0,1] neg_hi:[0,1]
	v_mov_b32_e32 v11, v17
	v_mov_b32_e32 v10, v8
	;; [unrolled: 1-line block ×4, first 2 shown]
	v_pk_add_f32 v[10:11], v[10:11], v[30:31] neg_lo:[0,1] neg_hi:[0,1]
	v_mov_b32_e32 v30, v16
	v_mov_b32_e32 v32, v8
	;; [unrolled: 1-line block ×3, first 2 shown]
	v_pk_add_f32 v[30:31], v[30:31], v[32:33] neg_lo:[0,1] neg_hi:[0,1]
	v_mov_b32_e32 v33, v42
	v_mov_b32_e32 v32, v23
	;; [unrolled: 1-line block ×4, first 2 shown]
	v_pk_add_f32 v[8:9], v[8:9], v[20:21]
	v_pk_add_f32 v[32:33], v[32:33], v[36:37]
	;; [unrolled: 1-line block ×4, first 2 shown]
	v_pk_mul_f32 v[36:37], v[10:11], s[16:17]
	v_mov_b32_e32 v18, v8
	v_mov_b32_e32 v10, v23
	;; [unrolled: 1-line block ×3, first 2 shown]
	v_pk_add_f32 v[42:43], v[18:19], v[10:11] neg_lo:[0,1] neg_hi:[0,1]
	v_mov_b32_e32 v28, v8
	v_pk_add_f32 v[46:47], v[32:33], v[8:9]
	ds_read2_b64 v[8:11], v79 offset1:98
	v_mov_b32_e32 v32, v15
	v_pk_add_f32 v[32:33], v[32:33], v[28:29] neg_lo:[0,1] neg_hi:[0,1]
	v_pk_mul_f32 v[42:43], v[42:43], s[6:7]
	v_pk_fma_f32 v[110:111], v[30:31], s[14:15], v[36:37]
	s_waitcnt lgkmcnt(0)
	v_pk_add_f32 v[8:9], v[8:9], v[46:47]
	v_pk_fma_f32 v[74:75], v[32:33], s[2:3], v[42:43]
	v_pk_fma_f32 v[46:47], v[46:47], s[8:9], v[8:9] op_sel_hi:[1,0,1] neg_lo:[1,0,0] neg_hi:[1,0,0]
	v_pk_fma_f32 v[110:111], v[38:39], s[10:11], v[110:111] op_sel_hi:[1,0,1]
	v_pk_add_f32 v[74:75], v[74:75], v[46:47]
	v_mov_b32_e32 v28, v23
	v_pk_add_f32 v[118:119], v[74:75], v[110:111]
	v_pk_add_f32 v[74:75], v[74:75], v[110:111] neg_lo:[0,1] neg_hi:[0,1]
	v_mov_b32_e32 v110, v118
	v_mov_b32_e32 v111, v75
	;; [unrolled: 1-line block ×3, first 2 shown]
	s_barrier
	ds_write2_b64 v144, v[8:9], v[110:111] offset1:28
	v_pk_add_f32 v[8:9], v[20:21], v[16:17] neg_lo:[0,1] neg_hi:[0,1]
	v_pk_add_f32 v[14:15], v[28:29], v[18:19] neg_lo:[0,1] neg_hi:[0,1]
	v_pk_mul_f32 v[16:17], v[30:31], s[14:15]
	v_pk_mul_f32 v[18:19], v[32:33], s[2:3]
	v_mov_b32_e32 v21, v43
	v_mov_b32_e32 v20, v18
	;; [unrolled: 1-line block ×6, first 2 shown]
	v_pk_fma_f32 v[20:21], v[14:15], s[12:13], v[20:21] op_sel_hi:[1,0,1] neg_lo:[1,0,1] neg_hi:[1,0,1]
	v_pk_fma_f32 v[22:23], v[8:9], s[18:19], v[22:23] op_sel_hi:[1,0,1] neg_lo:[1,0,1] neg_hi:[1,0,1]
	v_pk_fma_f32 v[14:15], v[14:15], s[12:13], v[42:43] op_sel_hi:[1,0,1] neg_lo:[0,0,1] neg_hi:[0,0,1]
	v_pk_fma_f32 v[8:9], v[8:9], s[18:19], v[36:37] op_sel_hi:[1,0,1] neg_lo:[0,0,1] neg_hi:[0,0,1]
	v_pk_add_f32 v[20:21], v[20:21], v[46:47]
	v_pk_fma_f32 v[22:23], v[38:39], s[10:11], v[22:23] op_sel_hi:[1,0,1]
	v_pk_add_f32 v[14:15], v[14:15], v[46:47]
	v_pk_fma_f32 v[8:9], v[38:39], s[10:11], v[8:9] op_sel_hi:[1,0,1]
	v_mov_b32_e32 v117, v0
	v_mov_b32_e32 v13, v26
	;; [unrolled: 1-line block ×4, first 2 shown]
	v_pk_add_f32 v[28:29], v[20:21], v[22:23]
	v_pk_add_f32 v[20:21], v[20:21], v[22:23] neg_lo:[0,1] neg_hi:[0,1]
	v_pk_add_f32 v[16:17], v[14:15], v[8:9] neg_lo:[0,1] neg_hi:[0,1]
	v_pk_add_f32 v[8:9], v[14:15], v[8:9]
	v_mov_b32_e32 v5, v7
	v_pk_add_f32 v[6:7], v[116:117], v[12:13]
	v_pk_add_f32 v[12:13], v[44:45], v[34:35]
	v_mov_b32_e32 v14, v28
	v_mov_b32_e32 v15, v21
	;; [unrolled: 1-line block ×11, first 2 shown]
	ds_write2_b64 v144, v[14:15], v[18:19] offset0:56 offset1:84
	ds_write2_b64 v144, v[8:9], v[20:21] offset0:112 offset1:140
	v_pk_add_f32 v[2:3], v[0:1], v[26:27]
	v_pk_add_f32 v[0:1], v[0:1], v[26:27] neg_lo:[0,1] neg_hi:[0,1]
	v_pk_add_f32 v[8:9], v[4:5], v[24:25]
	v_pk_add_f32 v[4:5], v[4:5], v[24:25] neg_lo:[0,1] neg_hi:[0,1]
	v_pk_add_f32 v[14:15], v[114:115], v[112:113] neg_lo:[0,1] neg_hi:[0,1]
	v_mov_b32_e32 v17, v1
	v_mov_b32_e32 v16, v14
	;; [unrolled: 1-line block ×4, first 2 shown]
	v_pk_add_f32 v[16:17], v[16:17], v[18:19] neg_lo:[0,1] neg_hi:[0,1]
	v_mov_b32_e32 v18, v0
	v_mov_b32_e32 v20, v14
	;; [unrolled: 1-line block ×3, first 2 shown]
	v_pk_add_f32 v[18:19], v[18:19], v[20:21] neg_lo:[0,1] neg_hi:[0,1]
	v_mov_b32_e32 v21, v112
	v_mov_b32_e32 v20, v9
	;; [unrolled: 1-line block ×4, first 2 shown]
	v_pk_add_f32 v[20:21], v[20:21], v[22:23]
	v_pk_add_f32 v[22:23], v[12:13], v[6:7]
	v_mov_b32_e32 v24, v9
	v_mov_b32_e32 v6, v22
	;; [unrolled: 1-line block ×4, first 2 shown]
	v_pk_add_f32 v[22:23], v[20:21], v[22:23]
	v_pk_add_f32 v[24:25], v[6:7], v[24:25] neg_lo:[0,1] neg_hi:[0,1]
	v_mov_b32_e32 v20, v3
	v_pk_add_f32 v[10:11], v[10:11], v[22:23]
	v_pk_mul_f32 v[16:17], v[16:17], s[16:17]
	v_pk_add_f32 v[14:15], v[14:15], v[4:5]
	v_pk_add_f32 v[20:21], v[20:21], v[12:13] neg_lo:[0,1] neg_hi:[0,1]
	v_pk_mul_f32 v[24:25], v[24:25], s[6:7]
	v_pk_add_f32 v[14:15], v[14:15], v[0:1]
	v_pk_fma_f32 v[22:23], v[22:23], s[8:9], v[10:11] op_sel_hi:[1,0,1] neg_lo:[1,0,0] neg_hi:[1,0,0]
	v_pk_fma_f32 v[26:27], v[20:21], s[2:3], v[24:25]
	v_pk_fma_f32 v[28:29], v[18:19], s[14:15], v[16:17]
	v_pk_add_f32 v[26:27], v[26:27], v[22:23]
	v_pk_fma_f32 v[28:29], v[14:15], s[10:11], v[28:29] op_sel_hi:[1,0,1]
	v_mov_b32_e32 v12, v9
	v_pk_add_f32 v[30:31], v[26:27], v[28:29]
	v_pk_add_f32 v[26:27], v[26:27], v[28:29] neg_lo:[0,1] neg_hi:[0,1]
	v_mov_b32_e32 v6, v3
	v_mov_b32_e32 v75, v119
	;; [unrolled: 1-line block ×4, first 2 shown]
	v_pk_add_f32 v[0:1], v[4:5], v[0:1] neg_lo:[0,1] neg_hi:[0,1]
	v_pk_add_f32 v[2:3], v[12:13], v[6:7] neg_lo:[0,1] neg_hi:[0,1]
	v_pk_mul_f32 v[4:5], v[18:19], s[14:15]
	v_pk_mul_f32 v[6:7], v[20:21], s[2:3]
	ds_write_b64 v144, v[74:75] offset:1344
	ds_write2_b64 v145, v[10:11], v[28:29] offset1:28
	v_mov_b32_e32 v8, v6
	v_mov_b32_e32 v9, v25
	;; [unrolled: 1-line block ×6, first 2 shown]
	v_pk_fma_f32 v[8:9], v[2:3], s[12:13], v[8:9] op_sel_hi:[1,0,1] neg_lo:[1,0,1] neg_hi:[1,0,1]
	v_pk_fma_f32 v[10:11], v[0:1], s[18:19], v[10:11] op_sel_hi:[1,0,1] neg_lo:[1,0,1] neg_hi:[1,0,1]
	;; [unrolled: 1-line block ×4, first 2 shown]
	v_pk_add_f32 v[8:9], v[8:9], v[22:23]
	v_pk_fma_f32 v[10:11], v[14:15], s[10:11], v[10:11] op_sel_hi:[1,0,1]
	v_pk_add_f32 v[2:3], v[2:3], v[22:23]
	v_pk_fma_f32 v[0:1], v[14:15], s[10:11], v[0:1] op_sel_hi:[1,0,1]
	v_pk_add_f32 v[12:13], v[8:9], v[10:11]
	v_pk_add_f32 v[8:9], v[8:9], v[10:11] neg_lo:[0,1] neg_hi:[0,1]
	v_pk_add_f32 v[4:5], v[2:3], v[0:1] neg_lo:[0,1] neg_hi:[0,1]
	v_pk_add_f32 v[0:1], v[2:3], v[0:1]
	v_mov_b32_e32 v2, v12
	v_mov_b32_e32 v3, v9
	;; [unrolled: 1-line block ×7, first 2 shown]
	ds_write2_b64 v145, v[2:3], v[6:7] offset0:56 offset1:84
	ds_write2_b64 v145, v[0:1], v[8:9] offset0:112 offset1:140
	ds_write_b64 v145, v[26:27] offset:1344
	s_waitcnt lgkmcnt(0)
	s_barrier
	ds_read2_b64 v[0:3], v126 offset0:68 offset1:166
	ds_read2_b64 v[4:7], v124 offset0:136 offset1:234
	s_waitcnt lgkmcnt(1)
	v_mov_b32_e32 v8, v1
	v_pk_mul_f32 v[10:11], v[68:69], v[0:1] op_sel_hi:[1,0]
	s_waitcnt lgkmcnt(0)
	v_pk_mul_f32 v[12:13], v[70:71], v[4:5] op_sel_hi:[1,0]
	v_pk_fma_f32 v[8:9], v[68:69], v[8:9], v[10:11] op_sel:[0,0,1] op_sel_hi:[1,1,0] neg_lo:[0,0,1] neg_hi:[0,0,1]
	v_pk_fma_f32 v[10:11], v[68:69], v[0:1], v[10:11] op_sel:[0,1,1] op_sel_hi:[1,1,0]
	v_mov_b32_e32 v0, v5
	v_pk_fma_f32 v[14:15], v[70:71], v[0:1], v[12:13] op_sel:[0,0,1] op_sel_hi:[1,1,0] neg_lo:[0,0,1] neg_hi:[0,0,1]
	v_pk_fma_f32 v[12:13], v[70:71], v[4:5], v[12:13] op_sel:[0,1,1] op_sel_hi:[1,1,0]
	v_mov_b32_e32 v0, v3
	v_pk_mul_f32 v[4:5], v[64:65], v[2:3] op_sel_hi:[1,0]
	v_pk_mul_f32 v[20:21], v[66:67], v[6:7] op_sel_hi:[1,0]
	v_pk_fma_f32 v[16:17], v[64:65], v[2:3], v[4:5] op_sel:[0,1,1] op_sel_hi:[1,1,0]
	v_pk_fma_f32 v[18:19], v[64:65], v[0:1], v[4:5] op_sel:[0,0,1] op_sel_hi:[1,1,0] neg_lo:[0,0,1] neg_hi:[0,0,1]
	v_mov_b32_e32 v4, v7
	ds_read2_b64 v[0:3], v125 offset0:84 offset1:182
	v_pk_fma_f32 v[22:23], v[66:67], v[6:7], v[20:21] op_sel:[0,1,1] op_sel_hi:[1,1,0]
	v_pk_fma_f32 v[20:21], v[66:67], v[4:5], v[20:21] op_sel:[0,0,1] op_sel_hi:[1,1,0] neg_lo:[0,0,1] neg_hi:[0,0,1]
	ds_read2_b64 v[4:7], v123 offset0:152 offset1:250
	v_mov_b32_e32 v12, v59
	s_waitcnt lgkmcnt(1)
	v_mov_b32_e32 v10, v1
	v_pk_mul_f32 v[24:25], v[48:49], v[0:1] op_sel_hi:[1,0]
	v_mov_b32_e32 v19, v17
	v_pk_fma_f32 v[26:27], v[48:49], v[10:11], v[24:25] op_sel:[0,0,1] op_sel_hi:[1,1,0] neg_lo:[0,0,1] neg_hi:[0,0,1]
	v_pk_fma_f32 v[24:25], v[48:49], v[0:1], v[24:25] op_sel:[0,1,1] op_sel_hi:[1,1,0]
	s_waitcnt lgkmcnt(0)
	v_mov_b32_e32 v0, v5
	v_pk_mul_f32 v[28:29], v[50:51], v[4:5] op_sel_hi:[1,0]
	v_pk_mul_f32 v[36:37], v[54:55], v[6:7] op_sel_hi:[1,0]
	v_pk_fma_f32 v[30:31], v[50:51], v[0:1], v[28:29] op_sel:[0,0,1] op_sel_hi:[1,1,0] neg_lo:[0,0,1] neg_hi:[0,0,1]
	v_pk_fma_f32 v[28:29], v[50:51], v[4:5], v[28:29] op_sel:[0,1,1] op_sel_hi:[1,1,0]
	v_mov_b32_e32 v0, v3
	v_pk_mul_f32 v[4:5], v[52:53], v[2:3] op_sel_hi:[1,0]
	v_mov_b32_e32 v10, v7
	v_pk_fma_f32 v[32:33], v[52:53], v[2:3], v[4:5] op_sel:[0,1,1] op_sel_hi:[1,1,0]
	v_pk_fma_f32 v[34:35], v[52:53], v[0:1], v[4:5] op_sel:[0,0,1] op_sel_hi:[1,1,0] neg_lo:[0,0,1] neg_hi:[0,0,1]
	ds_read2_b64 v[0:3], v128 offset0:76 offset1:174
	v_pk_fma_f32 v[38:39], v[54:55], v[6:7], v[36:37] op_sel:[0,1,1] op_sel_hi:[1,1,0]
	ds_read2_b64 v[4:7], v127 offset0:16 offset1:114
	v_pk_fma_f32 v[36:37], v[54:55], v[10:11], v[36:37] op_sel:[0,0,1] op_sel_hi:[1,1,0] neg_lo:[0,0,1] neg_hi:[0,0,1]
	v_mov_b32_e32 v9, v11
	s_waitcnt lgkmcnt(1)
	v_pk_mul_f32 v[40:41], v[56:57], v[0:1] op_sel:[0,1] op_sel_hi:[1,0]
	v_pk_mul_f32 v[44:45], v[56:57], v[0:1]
	v_mov_b32_e32 v10, v41
	s_waitcnt lgkmcnt(0)
	v_pk_mul_f32 v[42:43], v[58:59], v[4:5] op_sel:[0,1] op_sel_hi:[1,0]
	v_pk_fma_f32 v[40:41], v[56:57], v[0:1], v[10:11] op_sel:[0,1,0] op_sel_hi:[1,0,1] neg_lo:[0,0,1] neg_hi:[0,0,1]
	v_mov_b32_e32 v10, v43
	v_pk_fma_f32 v[42:43], v[58:59], v[4:5], v[10:11] op_sel:[0,1,0] op_sel_hi:[1,0,1] neg_lo:[0,0,1] neg_hi:[0,0,1]
	v_mov_b32_e32 v10, v57
	v_pk_mul_f32 v[0:1], v[10:11], v[0:1] op_sel:[0,1] op_sel_hi:[1,0]
	v_mov_b32_e32 v10, v61
	v_pk_mul_f32 v[50:51], v[60:61], v[2:3] op_sel:[0,1] op_sel_hi:[1,0]
	v_pk_mul_f32 v[46:47], v[58:59], v[4:5]
	v_pk_mul_f32 v[48:49], v[10:11], v[2:3] op_sel:[0,1] op_sel_hi:[1,0]
	v_mov_b32_e32 v10, v51
	v_pk_mul_f32 v[52:53], v[62:63], v[6:7] op_sel:[0,1] op_sel_hi:[1,0]
	v_pk_mul_f32 v[4:5], v[12:13], v[4:5] op_sel:[0,1] op_sel_hi:[1,0]
	v_pk_fma_f32 v[50:51], v[60:61], v[2:3], v[10:11] op_sel:[0,1,0] op_sel_hi:[1,0,1] neg_lo:[0,0,1] neg_hi:[0,0,1]
	v_mov_b32_e32 v10, v53
	v_mov_b32_e32 v47, v8
	;; [unrolled: 1-line block ×5, first 2 shown]
	v_pk_fma_f32 v[52:53], v[62:63], v[6:7], v[10:11] op_sel:[0,1,0] op_sel_hi:[1,0,1] neg_lo:[0,0,1] neg_hi:[0,0,1]
	v_mov_b32_e32 v10, v63
	v_pk_add_f32 v[4:5], v[46:47], v[4:5]
	v_pk_add_f32 v[16:17], v[44:45], v[0:1]
	v_pk_mul_f32 v[2:3], v[60:61], v[2:3]
	v_pk_mul_f32 v[54:55], v[62:63], v[6:7]
	v_pk_mul_f32 v[6:7], v[10:11], v[6:7] op_sel:[0,1] op_sel_hi:[1,0]
	v_mov_b32_e32 v15, v13
	v_mov_b32_e32 v27, v25
	;; [unrolled: 1-line block ×5, first 2 shown]
	v_pk_add_f32 v[10:11], v[8:9], v[30:31]
	v_pk_add_f32 v[8:9], v[8:9], v[30:31] neg_lo:[0,1] neg_hi:[0,1]
	v_pk_add_f32 v[12:13], v[14:15], v[26:27]
	v_pk_add_f32 v[14:15], v[14:15], v[26:27] neg_lo:[0,1] neg_hi:[0,1]
	v_pk_add_f32 v[0:1], v[42:43], v[40:41] neg_lo:[0,1] neg_hi:[0,1]
	v_mov_b32_e32 v55, v18
	v_mov_b32_e32 v7, v36
	;; [unrolled: 1-line block ×9, first 2 shown]
	v_pk_add_f32 v[6:7], v[54:55], v[6:7]
	v_pk_add_f32 v[30:31], v[2:3], v[48:49]
	v_mov_b32_e32 v35, v33
	v_mov_b32_e32 v37, v39
	v_pk_add_f32 v[22:23], v[22:23], v[24:25] neg_lo:[0,1] neg_hi:[0,1]
	v_mov_b32_e32 v24, v8
	v_mov_b32_e32 v26, v0
	;; [unrolled: 1-line block ×5, first 2 shown]
	v_pk_add_f32 v[24:25], v[24:25], v[26:27] neg_lo:[0,1] neg_hi:[0,1]
	v_pk_add_f32 v[26:27], v[18:19], v[36:37]
	v_pk_add_f32 v[18:19], v[18:19], v[36:37] neg_lo:[0,1] neg_hi:[0,1]
	v_pk_add_f32 v[28:29], v[20:21], v[34:35]
	v_pk_add_f32 v[20:21], v[20:21], v[34:35] neg_lo:[0,1] neg_hi:[0,1]
	v_pk_add_f32 v[32:33], v[52:53], v[50:51] neg_lo:[0,1] neg_hi:[0,1]
	v_mov_b32_e32 v3, v19
	v_mov_b32_e32 v2, v32
	v_mov_b32_e32 v34, v20
	v_mov_b32_e32 v35, v33
	v_pk_add_f32 v[34:35], v[2:3], v[34:35] neg_lo:[0,1] neg_hi:[0,1]
	v_mov_b32_e32 v2, v18
	v_mov_b32_e32 v3, v33
	v_mov_b32_e32 v36, v32
	v_mov_b32_e32 v37, v21
	;; [unrolled: 5-line block ×3, first 2 shown]
	v_pk_add_f32 v[0:1], v[0:1], v[14:15]
	v_pk_add_f32 v[38:39], v[2:3], v[38:39]
	;; [unrolled: 1-line block ×4, first 2 shown]
	v_mov_b32_e32 v3, v39
	v_mov_b32_e32 v4, v0
	v_pk_add_f32 v[42:43], v[4:5], v[2:3] neg_lo:[0,1] neg_hi:[0,1]
	v_mov_b32_e32 v16, v0
	v_pk_add_f32 v[44:45], v[38:39], v[0:1]
	ds_read2_b64 v[0:3], v79 offset1:98
	v_mov_b32_e32 v38, v11
	v_pk_add_f32 v[38:39], v[38:39], v[16:17] neg_lo:[0,1] neg_hi:[0,1]
	v_pk_mul_f32 v[22:23], v[22:23], s[16:17]
	v_pk_mul_f32 v[42:43], v[42:43], s[6:7]
	s_waitcnt lgkmcnt(0)
	v_pk_add_f32 v[0:1], v[0:1], v[44:45]
	v_mov_b32_e32 v16, v13
	v_mov_b32_e32 v4, v11
	v_pk_mul_f32 v[10:11], v[24:25], s[14:15]
	v_pk_mul_f32 v[12:13], v[38:39], s[2:3]
	v_pk_fma_f32 v[44:45], v[44:45], s[8:9], v[0:1] op_sel_hi:[1,0,1] neg_lo:[1,0,0] neg_hi:[1,0,0]
	v_pk_fma_f32 v[46:47], v[38:39], s[2:3], v[42:43]
	v_pk_fma_f32 v[48:49], v[24:25], s[14:15], v[22:23]
	v_pk_add_f32 v[8:9], v[14:15], v[8:9] neg_lo:[0,1] neg_hi:[0,1]
	v_pk_add_f32 v[4:5], v[16:17], v[4:5] neg_lo:[0,1] neg_hi:[0,1]
	v_mov_b32_e32 v14, v12
	v_mov_b32_e32 v15, v43
	;; [unrolled: 1-line block ×6, first 2 shown]
	v_pk_add_f32 v[46:47], v[46:47], v[44:45]
	v_pk_fma_f32 v[48:49], v[40:41], s[10:11], v[48:49] op_sel_hi:[1,0,1]
	v_pk_fma_f32 v[14:15], v[4:5], s[12:13], v[14:15] op_sel_hi:[1,0,1] neg_lo:[1,0,1] neg_hi:[1,0,1]
	v_pk_fma_f32 v[16:17], v[8:9], s[18:19], v[16:17] op_sel_hi:[1,0,1] neg_lo:[1,0,1] neg_hi:[1,0,1]
	;; [unrolled: 1-line block ×4, first 2 shown]
	v_pk_add_f32 v[54:55], v[46:47], v[48:49]
	v_pk_add_f32 v[46:47], v[46:47], v[48:49] neg_lo:[0,1] neg_hi:[0,1]
	v_mov_b32_e32 v49, v50
	v_mov_b32_e32 v48, v29
	;; [unrolled: 1-line block ×4, first 2 shown]
	v_pk_add_f32 v[4:5], v[4:5], v[44:45]
	v_pk_fma_f32 v[8:9], v[40:41], s[10:11], v[8:9] op_sel_hi:[1,0,1]
	v_pk_add_f32 v[48:49], v[48:49], v[50:51]
	v_pk_add_f32 v[50:51], v[30:31], v[6:7]
	;; [unrolled: 1-line block ×3, first 2 shown]
	v_pk_fma_f32 v[16:17], v[40:41], s[10:11], v[16:17] op_sel_hi:[1,0,1]
	v_pk_add_f32 v[10:11], v[4:5], v[8:9] neg_lo:[0,1] neg_hi:[0,1]
	v_pk_add_f32 v[4:5], v[4:5], v[8:9]
	v_mov_b32_e32 v6, v50
	v_mov_b32_e32 v30, v50
	v_pk_add_f32 v[50:51], v[48:49], v[50:51]
	v_pk_add_f32 v[24:25], v[14:15], v[16:17]
	v_pk_add_f32 v[14:15], v[14:15], v[16:17] neg_lo:[0,1] neg_hi:[0,1]
	v_mov_b32_e32 v9, v5
	v_mov_b32_e32 v5, v11
	;; [unrolled: 1-line block ×4, first 2 shown]
	v_pk_add_f32 v[2:3], v[2:3], v[50:51]
	ds_write_b64 v79, v[4:5] offset:6272
	v_mov_b32_e32 v5, v15
	v_mov_b32_e32 v15, v25
	;; [unrolled: 1-line block ×4, first 2 shown]
	v_pk_add_f32 v[16:17], v[6:7], v[16:17] neg_lo:[0,1] neg_hi:[0,1]
	v_mov_b32_e32 v48, v27
	ds_write_b64 v79, v[14:15] offset:7840
	ds_write_b64 v79, v[46:47] offset:9408
	ds_write2_b64 v79, v[0:1], v[2:3] offset1:98
	v_pk_fma_f32 v[0:1], v[50:51], s[8:9], v[2:3] op_sel_hi:[1,0,1] neg_lo:[1,0,0] neg_hi:[1,0,0]
	v_pk_mul_f32 v[2:3], v[34:35], s[16:17]
	v_pk_add_f32 v[14:15], v[32:33], v[20:21]
	v_pk_add_f32 v[22:23], v[48:49], v[30:31] neg_lo:[0,1] neg_hi:[0,1]
	v_pk_mul_f32 v[16:17], v[16:17], s[6:7]
	v_pk_add_f32 v[14:15], v[14:15], v[18:19]
	v_pk_fma_f32 v[32:33], v[22:23], s[2:3], v[16:17]
	v_pk_fma_f32 v[34:35], v[36:37], s[14:15], v[2:3]
	v_pk_add_f32 v[32:33], v[32:33], v[0:1]
	v_pk_fma_f32 v[34:35], v[14:15], s[10:11], v[34:35] op_sel_hi:[1,0,1]
	v_mov_b32_e32 v12, v54
	v_pk_add_f32 v[38:39], v[32:33], v[34:35]
	v_pk_add_f32 v[32:33], v[32:33], v[34:35] neg_lo:[0,1] neg_hi:[0,1]
	v_mov_b32_e32 v34, v38
	v_mov_b32_e32 v35, v33
	ds_write2_b64 v126, v[12:13], v[34:35] offset0:68 offset1:166
	v_pk_add_f32 v[12:13], v[20:21], v[18:19] neg_lo:[0,1] neg_hi:[0,1]
	v_mov_b32_e32 v30, v29
	v_mov_b32_e32 v6, v27
	v_pk_mul_f32 v[18:19], v[36:37], s[14:15]
	v_pk_mul_f32 v[20:21], v[22:23], s[2:3]
	v_mov_b32_e32 v4, v24
	v_pk_add_f32 v[6:7], v[30:31], v[6:7] neg_lo:[0,1] neg_hi:[0,1]
	v_mov_b32_e32 v22, v20
	v_mov_b32_e32 v23, v17
	;; [unrolled: 1-line block ×4, first 2 shown]
	v_pk_fma_f32 v[22:23], v[6:7], s[12:13], v[22:23] op_sel_hi:[1,0,1] neg_lo:[1,0,1] neg_hi:[1,0,1]
	v_pk_fma_f32 v[24:25], v[12:13], s[18:19], v[24:25] op_sel_hi:[1,0,1] neg_lo:[1,0,1] neg_hi:[1,0,1]
	v_pk_add_f32 v[22:23], v[22:23], v[0:1]
	v_pk_fma_f32 v[24:25], v[14:15], s[10:11], v[24:25] op_sel_hi:[1,0,1]
	v_mov_b32_e32 v17, v21
	v_pk_add_f32 v[26:27], v[22:23], v[24:25]
	v_pk_add_f32 v[22:23], v[22:23], v[24:25] neg_lo:[0,1] neg_hi:[0,1]
	v_mov_b32_e32 v24, v26
	v_mov_b32_e32 v25, v23
	v_mov_b32_e32 v3, v19
	ds_write2_b64 v124, v[4:5], v[24:25] offset0:136 offset1:234
	v_pk_fma_f32 v[4:5], v[6:7], s[12:13], v[16:17] op_sel_hi:[1,0,1] neg_lo:[0,0,1] neg_hi:[0,0,1]
	v_pk_fma_f32 v[2:3], v[12:13], s[18:19], v[2:3] op_sel_hi:[1,0,1] neg_lo:[0,0,1] neg_hi:[0,0,1]
	v_pk_add_f32 v[0:1], v[4:5], v[0:1]
	v_pk_fma_f32 v[2:3], v[14:15], s[10:11], v[2:3] op_sel_hi:[1,0,1]
	v_mov_b32_e32 v8, v10
	v_pk_add_f32 v[4:5], v[0:1], v[2:3] neg_lo:[0,1] neg_hi:[0,1]
	v_pk_add_f32 v[0:1], v[0:1], v[2:3]
	v_mov_b32_e32 v2, v4
	v_mov_b32_e32 v3, v1
	;; [unrolled: 1-line block ×5, first 2 shown]
	ds_write2_b64 v128, v[8:9], v[2:3] offset0:76 offset1:174
	ds_write_b64 v79, v[0:1] offset:7056
	ds_write_b64 v79, v[22:23] offset:8624
	;; [unrolled: 1-line block ×3, first 2 shown]
	s_waitcnt lgkmcnt(0)
	s_barrier
	ds_read2_b64 v[0:3], v79 offset1:98
	v_mov_b32_e32 v8, s0
	v_mov_b32_e32 v9, s1
	s_mov_b32 s0, 0x515a4f1d
	s_mov_b32 s1, 0x3f47e225
	s_waitcnt lgkmcnt(0)
	v_mul_f32_e32 v4, v105, v1
	v_fmac_f32_e32 v4, v104, v0
	v_mul_f32_e32 v0, v105, v0
	v_fma_f32 v0, v104, v1, -v0
	v_cvt_f64_f32_e32 v[0:1], v0
	v_cvt_f64_f32_e32 v[4:5], v4
	v_mul_f64 v[0:1], v[0:1], s[0:1]
	v_mul_f64 v[4:5], v[4:5], s[0:1]
	v_cvt_f32_f64_e32 v11, v[0:1]
	v_mad_u64_u32 v[0:1], s[2:3], s4, v86, 0
	v_cvt_f32_f64_e32 v10, v[4:5]
	v_mov_b32_e32 v4, v1
	v_mad_u64_u32 v[12:13], s[2:3], s5, v86, v[4:5]
	ds_read2_b64 v[4:7], v128 offset0:76 offset1:174
	v_mov_b32_e32 v79, v92
	v_mov_b32_e32 v1, v12
	v_lshl_add_u64 v[8:9], v[78:79], 3, v[8:9]
	v_lshl_add_u64 v[0:1], v[0:1], 3, v[8:9]
	s_waitcnt lgkmcnt(0)
	v_mul_f32_e32 v8, v109, v7
	v_fmac_f32_e32 v8, v108, v6
	v_mul_f32_e32 v6, v109, v6
	v_fma_f32 v6, v108, v7, -v6
	v_cvt_f64_f32_e32 v[8:9], v8
	v_cvt_f64_f32_e32 v[6:7], v6
	v_mul_f64 v[8:9], v[8:9], s[0:1]
	v_mul_f64 v[6:7], v[6:7], s[0:1]
	v_cvt_f32_f64_e32 v8, v[8:9]
	v_cvt_f32_f64_e32 v9, v[6:7]
	v_mul_f32_e32 v6, v95, v3
	v_fmac_f32_e32 v6, v94, v2
	v_mul_f32_e32 v2, v95, v2
	global_store_dwordx2 v[0:1], v[10:11], off
	v_mad_u64_u32 v[0:1], s[2:3], s4, v93, v[0:1]
	v_fma_f32 v2, v94, v3, -v2
	s_mul_i32 s2, s5, 0x1570
	v_cvt_f64_f32_e32 v[6:7], v6
	v_cvt_f64_f32_e32 v[2:3], v2
	v_add_u32_e32 v1, s2, v1
	v_mul_f64 v[6:7], v[6:7], s[0:1]
	v_mul_f64 v[2:3], v[2:3], s[0:1]
	global_store_dwordx2 v[0:1], v[8:9], off
	v_cvt_f32_f64_e32 v6, v[6:7]
	v_cvt_f32_f64_e32 v7, v[2:3]
	v_mad_u64_u32 v[10:11], s[6:7], s4, v122, v[0:1]
	ds_read2_b64 v[0:3], v127 offset0:16 offset1:114
	s_mul_i32 s3, s5, 0xffffeda0
	s_sub_i32 s3, s3, s4
	v_add_u32_e32 v11, s3, v11
	global_store_dwordx2 v[10:11], v[6:7], off
	s_waitcnt lgkmcnt(0)
	v_mul_f32_e32 v6, v107, v1
	v_fmac_f32_e32 v6, v106, v0
	v_cvt_f64_f32_e32 v[6:7], v6
	v_mul_f64 v[6:7], v[6:7], s[0:1]
	v_cvt_f32_f64_e32 v12, v[6:7]
	ds_read2_b64 v[6:9], v126 offset0:68 offset1:166
	v_mul_f32_e32 v0, v107, v0
	v_fma_f32 v0, v106, v1, -v0
	v_cvt_f64_f32_e32 v[0:1], v0
	v_mul_f64 v[0:1], v[0:1], s[0:1]
	v_cvt_f32_f64_e32 v13, v[0:1]
	v_mad_u64_u32 v[0:1], s[6:7], s4, v93, v[10:11]
	s_waitcnt lgkmcnt(0)
	v_mul_f32_e32 v10, v83, v7
	v_fmac_f32_e32 v10, v82, v6
	v_mul_f32_e32 v6, v83, v6
	v_fma_f32 v6, v82, v7, -v6
	v_cvt_f64_f32_e32 v[10:11], v10
	v_cvt_f64_f32_e32 v[6:7], v6
	v_add_u32_e32 v1, s2, v1
	v_mul_f64 v[10:11], v[10:11], s[0:1]
	v_mul_f64 v[6:7], v[6:7], s[0:1]
	global_store_dwordx2 v[0:1], v[12:13], off
	v_cvt_f32_f64_e32 v10, v[10:11]
	v_cvt_f32_f64_e32 v11, v[6:7]
	v_mad_u64_u32 v[0:1], s[6:7], s4, v122, v[0:1]
	v_mul_f32_e32 v6, v99, v3
	v_add_u32_e32 v1, s3, v1
	v_fmac_f32_e32 v6, v98, v2
	v_mul_f32_e32 v2, v99, v2
	global_store_dwordx2 v[0:1], v[10:11], off
	v_fma_f32 v2, v98, v3, -v2
	v_mad_u64_u32 v[10:11], s[6:7], s4, v93, v[0:1]
	v_mul_f32_e32 v0, v81, v9
	v_cvt_f64_f32_e32 v[6:7], v6
	v_cvt_f64_f32_e32 v[2:3], v2
	v_fmac_f32_e32 v0, v80, v8
	v_mul_f64 v[6:7], v[6:7], s[0:1]
	v_mul_f64 v[2:3], v[2:3], s[0:1]
	v_cvt_f64_f32_e32 v[0:1], v0
	v_cvt_f32_f64_e32 v6, v[6:7]
	v_cvt_f32_f64_e32 v7, v[2:3]
	v_add_u32_e32 v11, s2, v11
	v_mul_f64 v[0:1], v[0:1], s[0:1]
	global_store_dwordx2 v[10:11], v[6:7], off
	v_cvt_f32_f64_e32 v6, v[0:1]
	v_mul_f32_e32 v0, v81, v8
	v_fma_f32 v0, v80, v9, -v0
	v_cvt_f64_f32_e32 v[0:1], v0
	v_mul_f64 v[0:1], v[0:1], s[0:1]
	v_cvt_f32_f64_e32 v7, v[0:1]
	ds_read2_b64 v[0:3], v125 offset0:84 offset1:182
	v_mad_u64_u32 v[10:11], s[6:7], s4, v122, v[10:11]
	v_add_u32_e32 v11, s3, v11
	global_store_dwordx2 v[10:11], v[6:7], off
	s_waitcnt lgkmcnt(0)
	v_mul_f32_e32 v6, v85, v1
	v_fmac_f32_e32 v6, v84, v0
	v_cvt_f64_f32_e32 v[6:7], v6
	v_mul_f64 v[6:7], v[6:7], s[0:1]
	v_cvt_f32_f64_e32 v12, v[6:7]
	ds_read2_b64 v[6:9], v124 offset0:136 offset1:234
	v_mul_f32_e32 v0, v85, v0
	v_fma_f32 v0, v84, v1, -v0
	v_cvt_f64_f32_e32 v[0:1], v0
	v_mul_f64 v[0:1], v[0:1], s[0:1]
	v_cvt_f32_f64_e32 v13, v[0:1]
	v_mad_u64_u32 v[0:1], s[6:7], s4, v93, v[10:11]
	s_waitcnt lgkmcnt(0)
	v_mul_f32_e32 v10, v77, v7
	v_fmac_f32_e32 v10, v76, v6
	v_mul_f32_e32 v6, v77, v6
	v_fma_f32 v6, v76, v7, -v6
	v_cvt_f64_f32_e32 v[10:11], v10
	v_cvt_f64_f32_e32 v[6:7], v6
	v_add_u32_e32 v1, s2, v1
	v_mul_f64 v[10:11], v[10:11], s[0:1]
	v_mul_f64 v[6:7], v[6:7], s[0:1]
	global_store_dwordx2 v[0:1], v[12:13], off
	v_cvt_f32_f64_e32 v10, v[10:11]
	v_cvt_f32_f64_e32 v11, v[6:7]
	v_mad_u64_u32 v[0:1], s[6:7], s4, v122, v[0:1]
	v_mul_f32_e32 v6, v103, v3
	v_add_u32_e32 v1, s3, v1
	v_fmac_f32_e32 v6, v102, v2
	v_mul_f32_e32 v2, v103, v2
	global_store_dwordx2 v[0:1], v[10:11], off
	v_fma_f32 v2, v102, v3, -v2
	v_mad_u64_u32 v[10:11], s[6:7], s4, v93, v[0:1]
	v_mul_f32_e32 v0, v101, v9
	v_cvt_f64_f32_e32 v[6:7], v6
	v_cvt_f64_f32_e32 v[2:3], v2
	v_fmac_f32_e32 v0, v100, v8
	v_mul_f64 v[6:7], v[6:7], s[0:1]
	v_mul_f64 v[2:3], v[2:3], s[0:1]
	v_cvt_f64_f32_e32 v[0:1], v0
	v_cvt_f32_f64_e32 v6, v[6:7]
	v_cvt_f32_f64_e32 v7, v[2:3]
	v_add_u32_e32 v11, s2, v11
	v_mul_f64 v[0:1], v[0:1], s[0:1]
	global_store_dwordx2 v[10:11], v[6:7], off
	v_cvt_f32_f64_e32 v6, v[0:1]
	v_mul_f32_e32 v0, v101, v8
	v_fma_f32 v0, v100, v9, -v0
	v_cvt_f64_f32_e32 v[0:1], v0
	v_mul_f64 v[0:1], v[0:1], s[0:1]
	v_cvt_f32_f64_e32 v7, v[0:1]
	ds_read2_b64 v[0:3], v123 offset0:152 offset1:250
	v_mad_u64_u32 v[8:9], s[6:7], s4, v122, v[10:11]
	v_add_u32_e32 v9, s3, v9
	global_store_dwordx2 v[8:9], v[6:7], off
	s_waitcnt lgkmcnt(0)
	v_mul_f32_e32 v6, v97, v1
	v_fmac_f32_e32 v6, v96, v0
	v_mul_f32_e32 v0, v97, v0
	v_fma_f32 v0, v96, v1, -v0
	v_cvt_f64_f32_e32 v[6:7], v6
	v_cvt_f64_f32_e32 v[0:1], v0
	v_mul_f64 v[6:7], v[6:7], s[0:1]
	v_mul_f64 v[0:1], v[0:1], s[0:1]
	v_cvt_f32_f64_e32 v6, v[6:7]
	v_cvt_f32_f64_e32 v7, v[0:1]
	v_mad_u64_u32 v[0:1], s[6:7], s4, v93, v[8:9]
	v_add_u32_e32 v1, s2, v1
	global_store_dwordx2 v[0:1], v[6:7], off
	v_mul_f32_e32 v6, v89, v5
	v_fmac_f32_e32 v6, v88, v4
	v_mul_f32_e32 v4, v89, v4
	v_fma_f32 v4, v88, v5, -v4
	v_cvt_f64_f32_e32 v[6:7], v6
	v_cvt_f64_f32_e32 v[4:5], v4
	v_mul_f64 v[6:7], v[6:7], s[0:1]
	v_mul_f64 v[4:5], v[4:5], s[0:1]
	v_cvt_f32_f64_e32 v6, v[6:7]
	v_cvt_f32_f64_e32 v7, v[4:5]
	v_mul_f32_e32 v4, v91, v3
	v_fmac_f32_e32 v4, v90, v2
	v_mul_f32_e32 v2, v91, v2
	v_mad_u64_u32 v[0:1], s[6:7], s4, v122, v[0:1]
	v_fma_f32 v2, v90, v3, -v2
	v_add_u32_e32 v1, s3, v1
	v_cvt_f64_f32_e32 v[4:5], v4
	v_cvt_f64_f32_e32 v[2:3], v2
	global_store_dwordx2 v[0:1], v[6:7], off
	v_mul_f64 v[4:5], v[4:5], s[0:1]
	v_mul_f64 v[2:3], v[2:3], s[0:1]
	v_mad_u64_u32 v[0:1], s[0:1], s4, v93, v[0:1]
	v_cvt_f32_f64_e32 v4, v[4:5]
	v_cvt_f32_f64_e32 v5, v[2:3]
	v_add_u32_e32 v1, s2, v1
	global_store_dwordx2 v[0:1], v[4:5], off
.LBB0_2:
	s_endpgm
	.section	.rodata,"a",@progbits
	.p2align	6, 0x0
	.amdhsa_kernel bluestein_single_fwd_len1372_dim1_sp_op_CI_CI
		.amdhsa_group_segment_fixed_size 21952
		.amdhsa_private_segment_fixed_size 0
		.amdhsa_kernarg_size 104
		.amdhsa_user_sgpr_count 2
		.amdhsa_user_sgpr_dispatch_ptr 0
		.amdhsa_user_sgpr_queue_ptr 0
		.amdhsa_user_sgpr_kernarg_segment_ptr 1
		.amdhsa_user_sgpr_dispatch_id 0
		.amdhsa_user_sgpr_kernarg_preload_length 0
		.amdhsa_user_sgpr_kernarg_preload_offset 0
		.amdhsa_user_sgpr_private_segment_size 0
		.amdhsa_uses_dynamic_stack 0
		.amdhsa_enable_private_segment 0
		.amdhsa_system_sgpr_workgroup_id_x 1
		.amdhsa_system_sgpr_workgroup_id_y 0
		.amdhsa_system_sgpr_workgroup_id_z 0
		.amdhsa_system_sgpr_workgroup_info 0
		.amdhsa_system_vgpr_workitem_id 0
		.amdhsa_next_free_vgpr 190
		.amdhsa_next_free_sgpr 24
		.amdhsa_accum_offset 192
		.amdhsa_reserve_vcc 1
		.amdhsa_float_round_mode_32 0
		.amdhsa_float_round_mode_16_64 0
		.amdhsa_float_denorm_mode_32 3
		.amdhsa_float_denorm_mode_16_64 3
		.amdhsa_dx10_clamp 1
		.amdhsa_ieee_mode 1
		.amdhsa_fp16_overflow 0
		.amdhsa_tg_split 0
		.amdhsa_exception_fp_ieee_invalid_op 0
		.amdhsa_exception_fp_denorm_src 0
		.amdhsa_exception_fp_ieee_div_zero 0
		.amdhsa_exception_fp_ieee_overflow 0
		.amdhsa_exception_fp_ieee_underflow 0
		.amdhsa_exception_fp_ieee_inexact 0
		.amdhsa_exception_int_div_zero 0
	.end_amdhsa_kernel
	.text
.Lfunc_end0:
	.size	bluestein_single_fwd_len1372_dim1_sp_op_CI_CI, .Lfunc_end0-bluestein_single_fwd_len1372_dim1_sp_op_CI_CI
                                        ; -- End function
	.section	.AMDGPU.csdata,"",@progbits
; Kernel info:
; codeLenInByte = 14608
; NumSgprs: 30
; NumVgprs: 190
; NumAgprs: 0
; TotalNumVgprs: 190
; ScratchSize: 0
; MemoryBound: 0
; FloatMode: 240
; IeeeMode: 1
; LDSByteSize: 21952 bytes/workgroup (compile time only)
; SGPRBlocks: 3
; VGPRBlocks: 23
; NumSGPRsForWavesPerEU: 30
; NumVGPRsForWavesPerEU: 190
; AccumOffset: 192
; Occupancy: 2
; WaveLimiterHint : 1
; COMPUTE_PGM_RSRC2:SCRATCH_EN: 0
; COMPUTE_PGM_RSRC2:USER_SGPR: 2
; COMPUTE_PGM_RSRC2:TRAP_HANDLER: 0
; COMPUTE_PGM_RSRC2:TGID_X_EN: 1
; COMPUTE_PGM_RSRC2:TGID_Y_EN: 0
; COMPUTE_PGM_RSRC2:TGID_Z_EN: 0
; COMPUTE_PGM_RSRC2:TIDIG_COMP_CNT: 0
; COMPUTE_PGM_RSRC3_GFX90A:ACCUM_OFFSET: 47
; COMPUTE_PGM_RSRC3_GFX90A:TG_SPLIT: 0
	.text
	.p2alignl 6, 3212836864
	.fill 256, 4, 3212836864
	.type	__hip_cuid_f8dded847e702a51,@object ; @__hip_cuid_f8dded847e702a51
	.section	.bss,"aw",@nobits
	.globl	__hip_cuid_f8dded847e702a51
__hip_cuid_f8dded847e702a51:
	.byte	0                               ; 0x0
	.size	__hip_cuid_f8dded847e702a51, 1

	.ident	"AMD clang version 19.0.0git (https://github.com/RadeonOpenCompute/llvm-project roc-6.4.0 25133 c7fe45cf4b819c5991fe208aaa96edf142730f1d)"
	.section	".note.GNU-stack","",@progbits
	.addrsig
	.addrsig_sym __hip_cuid_f8dded847e702a51
	.amdgpu_metadata
---
amdhsa.kernels:
  - .agpr_count:     0
    .args:
      - .actual_access:  read_only
        .address_space:  global
        .offset:         0
        .size:           8
        .value_kind:     global_buffer
      - .actual_access:  read_only
        .address_space:  global
        .offset:         8
        .size:           8
        .value_kind:     global_buffer
      - .actual_access:  read_only
        .address_space:  global
        .offset:         16
        .size:           8
        .value_kind:     global_buffer
      - .actual_access:  read_only
        .address_space:  global
        .offset:         24
        .size:           8
        .value_kind:     global_buffer
      - .actual_access:  read_only
        .address_space:  global
        .offset:         32
        .size:           8
        .value_kind:     global_buffer
      - .offset:         40
        .size:           8
        .value_kind:     by_value
      - .address_space:  global
        .offset:         48
        .size:           8
        .value_kind:     global_buffer
      - .address_space:  global
        .offset:         56
        .size:           8
        .value_kind:     global_buffer
      - .address_space:  global
        .offset:         64
        .size:           8
        .value_kind:     global_buffer
      - .address_space:  global
        .offset:         72
        .size:           8
        .value_kind:     global_buffer
      - .offset:         80
        .size:           4
        .value_kind:     by_value
      - .address_space:  global
        .offset:         88
        .size:           8
        .value_kind:     global_buffer
      - .address_space:  global
        .offset:         96
        .size:           8
        .value_kind:     global_buffer
    .group_segment_fixed_size: 21952
    .kernarg_segment_align: 8
    .kernarg_segment_size: 104
    .language:       OpenCL C
    .language_version:
      - 2
      - 0
    .max_flat_workgroup_size: 196
    .name:           bluestein_single_fwd_len1372_dim1_sp_op_CI_CI
    .private_segment_fixed_size: 0
    .sgpr_count:     30
    .sgpr_spill_count: 0
    .symbol:         bluestein_single_fwd_len1372_dim1_sp_op_CI_CI.kd
    .uniform_work_group_size: 1
    .uses_dynamic_stack: false
    .vgpr_count:     190
    .vgpr_spill_count: 0
    .wavefront_size: 64
amdhsa.target:   amdgcn-amd-amdhsa--gfx950
amdhsa.version:
  - 1
  - 2
...

	.end_amdgpu_metadata
